;; amdgpu-corpus repo=pytorch/pytorch kind=compiled arch=gfx906 opt=O3
	.amdgcn_target "amdgcn-amd-amdhsa--gfx906"
	.amdhsa_code_object_version 6
	.section	.text._ZN2at6native30max_unpooling2d_forward_kernelIhEEvlPKT_PKllllllPS2_,"axG",@progbits,_ZN2at6native30max_unpooling2d_forward_kernelIhEEvlPKT_PKllllllPS2_,comdat
	.protected	_ZN2at6native30max_unpooling2d_forward_kernelIhEEvlPKT_PKllllllPS2_ ; -- Begin function _ZN2at6native30max_unpooling2d_forward_kernelIhEEvlPKT_PKllllllPS2_
	.globl	_ZN2at6native30max_unpooling2d_forward_kernelIhEEvlPKT_PKllllllPS2_
	.p2align	8
	.type	_ZN2at6native30max_unpooling2d_forward_kernelIhEEvlPKT_PKllllllPS2_,@function
_ZN2at6native30max_unpooling2d_forward_kernelIhEEvlPKT_PKllllllPS2_: ; @_ZN2at6native30max_unpooling2d_forward_kernelIhEEvlPKT_PKllllllPS2_
; %bb.0:
	s_load_dword s2, s[4:5], 0x54
	s_load_dwordx16 s[8:23], s[4:5], 0x0
	s_add_u32 s0, s4, 0x48
	v_mov_b32_e32 v2, 0
	s_addc_u32 s1, s5, 0
	s_waitcnt lgkmcnt(0)
	s_and_b32 s7, s2, 0xffff
	v_mov_b32_e32 v1, v2
	v_mov_b32_e32 v3, s6
	v_mad_u64_u32 v[0:1], s[2:3], s7, v3, v[0:1]
	v_cmp_gt_i64_e32 vcc, s[8:9], v[0:1]
	s_and_saveexec_b64 s[2:3], vcc
	s_cbranch_execz .LBB0_18
; %bb.1:
	s_load_dwordx2 s[24:25], s[4:5], 0x40
	s_mul_i32 s2, s22, s21
	s_load_dword s0, s[0:1], 0x0
	s_mul_hi_u32 s3, s22, s20
	v_mov_b32_e32 v3, v0
	s_add_i32 s1, s3, s2
	s_mul_i32 s2, s23, s20
	s_waitcnt lgkmcnt(0)
	s_mul_i32 s33, s0, s7
	v_mov_b32_e32 v4, s24
	v_mov_b32_e32 v7, v3
	s_add_i32 s3, s1, s2
	s_mul_i32 s2, s22, s20
	s_mov_b32 s36, s33
	s_mov_b64 s[4:5], 0
	v_mov_b32_e32 v5, s25
	v_mov_b32_e32 v14, s13
	s_ashr_i32 s20, s19, 31
	v_mov_b32_e32 v6, v2
                                        ; implicit-def: $sgpr6_sgpr7
                                        ; implicit-def: $sgpr24_sgpr25
                                        ; implicit-def: $sgpr22_sgpr23
.LBB0_2:                                ; =>This Inner Loop Header: Depth=1
	v_ashrrev_i64 v[8:9], 29, v[6:7]
	s_or_b64 s[22:23], s[22:23], exec
	v_add_co_u32_e32 v8, vcc, s12, v8
	v_addc_co_u32_e32 v9, vcc, v14, v9, vcc
	global_load_dwordx2 v[8:9], v[8:9], off
	s_or_b64 s[24:25], s[24:25], exec
	s_waitcnt vmcnt(0)
	v_ashrrev_i32_e32 v9, 31, v8
	v_cmp_gt_i64_e32 vcc, s[2:3], v[8:9]
	v_cmp_lt_i32_e64 s[0:1], -1, v8
	s_and_b64 s[0:1], s[0:1], vcc
	s_and_saveexec_b64 s[26:27], s[0:1]
	s_cbranch_execz .LBB0_16
; %bb.3:                                ;   in Loop: Header=BB0_2 Depth=1
	v_ashrrev_i32_e32 v15, 31, v7
	v_or_b32_e32 v3, s19, v15
	v_cmp_ne_u64_e32 vcc, 0, v[2:3]
                                        ; implicit-def: $vgpr12_vgpr13
	s_and_saveexec_b64 s[0:1], vcc
	s_xor_b64 s[28:29], exec, s[0:1]
	s_cbranch_execz .LBB0_5
; %bb.4:                                ;   in Loop: Header=BB0_2 Depth=1
	s_add_u32 s0, s18, s20
	s_mov_b32 s21, s20
	s_addc_u32 s1, s19, s20
	s_xor_b64 s[30:31], s[0:1], s[20:21]
	v_cvt_f32_u32_e32 v3, s30
	v_cvt_f32_u32_e32 v10, s31
	s_sub_u32 s13, 0, s30
	s_subb_u32 s21, 0, s31
	v_mac_f32_e32 v3, 0x4f800000, v10
	v_rcp_f32_e32 v3, v3
	v_mul_f32_e32 v3, 0x5f7ffffc, v3
	v_mul_f32_e32 v10, 0x2f800000, v3
	v_trunc_f32_e32 v10, v10
	v_mac_f32_e32 v3, 0xcf800000, v10
	v_cvt_u32_f32_e32 v10, v10
	v_cvt_u32_f32_e32 v3, v3
	v_readfirstlane_b32 s34, v10
	v_readfirstlane_b32 s0, v3
	s_mul_i32 s1, s13, s34
	s_mul_hi_u32 s37, s13, s0
	s_mul_i32 s35, s21, s0
	s_add_i32 s1, s37, s1
	s_add_i32 s1, s1, s35
	s_mul_i32 s38, s13, s0
	s_mul_i32 s37, s0, s1
	s_mul_hi_u32 s39, s0, s38
	s_mul_hi_u32 s35, s0, s1
	s_add_u32 s37, s39, s37
	s_addc_u32 s35, 0, s35
	s_mul_hi_u32 s40, s34, s38
	s_mul_i32 s38, s34, s38
	s_add_u32 s37, s37, s38
	s_mul_hi_u32 s39, s34, s1
	s_addc_u32 s35, s35, s40
	s_addc_u32 s37, s39, 0
	s_mul_i32 s1, s34, s1
	s_add_u32 s1, s35, s1
	s_addc_u32 s35, 0, s37
	s_add_u32 s37, s0, s1
	s_cselect_b64 s[0:1], -1, 0
	s_cmp_lg_u64 s[0:1], 0
	s_addc_u32 s34, s34, s35
	s_mul_i32 s0, s13, s34
	s_mul_hi_u32 s1, s13, s37
	s_add_i32 s0, s1, s0
	s_mul_i32 s21, s21, s37
	s_add_i32 s0, s0, s21
	s_mul_i32 s13, s13, s37
	s_mul_hi_u32 s21, s34, s13
	s_mul_i32 s35, s34, s13
	s_mul_i32 s39, s37, s0
	s_mul_hi_u32 s13, s37, s13
	s_mul_hi_u32 s38, s37, s0
	s_add_u32 s13, s13, s39
	s_addc_u32 s38, 0, s38
	s_add_u32 s13, s13, s35
	s_mul_hi_u32 s1, s34, s0
	s_addc_u32 s13, s38, s21
	s_addc_u32 s1, s1, 0
	s_mul_i32 s0, s34, s0
	s_add_u32 s0, s13, s0
	s_addc_u32 s13, 0, s1
	s_add_u32 s21, s37, s0
	s_cselect_b64 s[0:1], -1, 0
	v_ashrrev_i32_e32 v3, 31, v15
	s_cmp_lg_u64 s[0:1], 0
	v_add_co_u32_e32 v10, vcc, v7, v3
	s_addc_u32 s13, s34, s13
	v_xor_b32_e32 v16, v10, v3
	v_mad_u64_u32 v[10:11], s[0:1], v16, s13, 0
	v_mul_hi_u32 v13, v16, s21
	v_addc_co_u32_e32 v12, vcc, v15, v3, vcc
	v_xor_b32_e32 v17, v12, v3
	v_add_co_u32_e32 v18, vcc, v13, v10
	v_addc_co_u32_e32 v19, vcc, 0, v11, vcc
	v_mad_u64_u32 v[10:11], s[0:1], v17, s21, 0
	v_mad_u64_u32 v[12:13], s[0:1], v17, s13, 0
	v_add_co_u32_e32 v10, vcc, v18, v10
	v_addc_co_u32_e32 v10, vcc, v19, v11, vcc
	v_addc_co_u32_e32 v11, vcc, 0, v13, vcc
	v_add_co_u32_e32 v12, vcc, v10, v12
	v_addc_co_u32_e32 v13, vcc, 0, v11, vcc
	v_mul_lo_u32 v18, s31, v12
	v_mul_lo_u32 v19, s30, v13
	v_mad_u64_u32 v[10:11], s[0:1], s30, v12, 0
	v_xor_b32_e32 v3, s20, v3
	v_add3_u32 v11, v11, v19, v18
	v_sub_u32_e32 v18, v17, v11
	v_mov_b32_e32 v19, s31
	v_sub_co_u32_e32 v10, vcc, v16, v10
	v_subb_co_u32_e64 v16, s[0:1], v18, v19, vcc
	v_subrev_co_u32_e64 v18, s[0:1], s30, v10
	v_subbrev_co_u32_e64 v16, s[0:1], 0, v16, s[0:1]
	v_cmp_le_u32_e64 s[0:1], s31, v16
	v_cndmask_b32_e64 v19, 0, -1, s[0:1]
	v_cmp_le_u32_e64 s[0:1], s30, v18
	v_cndmask_b32_e64 v18, 0, -1, s[0:1]
	v_cmp_eq_u32_e64 s[0:1], s31, v16
	v_cndmask_b32_e64 v16, v19, v18, s[0:1]
	v_add_co_u32_e64 v18, s[0:1], 2, v12
	v_subb_co_u32_e32 v11, vcc, v17, v11, vcc
	v_addc_co_u32_e64 v19, s[0:1], 0, v13, s[0:1]
	v_cmp_le_u32_e32 vcc, s31, v11
	v_add_co_u32_e64 v20, s[0:1], 1, v12
	v_cndmask_b32_e64 v17, 0, -1, vcc
	v_cmp_le_u32_e32 vcc, s30, v10
	v_addc_co_u32_e64 v21, s[0:1], 0, v13, s[0:1]
	v_cndmask_b32_e64 v10, 0, -1, vcc
	v_cmp_eq_u32_e32 vcc, s31, v11
	v_cmp_ne_u32_e64 s[0:1], 0, v16
	v_cndmask_b32_e32 v10, v17, v10, vcc
	v_cmp_ne_u32_e32 vcc, 0, v10
	v_cndmask_b32_e64 v11, v20, v18, s[0:1]
	v_cndmask_b32_e64 v16, v21, v19, s[0:1]
	v_cndmask_b32_e32 v11, v12, v11, vcc
	v_cndmask_b32_e32 v10, v13, v16, vcc
	v_xor_b32_e32 v11, v11, v3
	v_xor_b32_e32 v10, v10, v3
	v_sub_co_u32_e32 v12, vcc, v11, v3
	v_subb_co_u32_e32 v13, vcc, v10, v3, vcc
.LBB0_5:                                ;   in Loop: Header=BB0_2 Depth=1
	s_andn2_saveexec_b64 s[0:1], s[28:29]
	s_cbranch_execz .LBB0_7
; %bb.6:                                ;   in Loop: Header=BB0_2 Depth=1
	v_cvt_f32_u32_e32 v3, s18
	s_sub_i32 s13, 0, s18
	v_mov_b32_e32 v13, v2
	v_rcp_iflag_f32_e32 v3, v3
	v_mul_f32_e32 v3, 0x4f7ffffe, v3
	v_cvt_u32_f32_e32 v3, v3
	v_mul_lo_u32 v10, s13, v3
	v_mul_hi_u32 v10, v3, v10
	v_add_u32_e32 v3, v3, v10
	v_mul_hi_u32 v3, v7, v3
	v_mul_lo_u32 v10, v3, s18
	v_add_u32_e32 v11, 1, v3
	v_sub_u32_e32 v10, v7, v10
	v_subrev_u32_e32 v12, s18, v10
	v_cmp_le_u32_e32 vcc, s18, v10
	v_cndmask_b32_e32 v10, v10, v12, vcc
	v_cndmask_b32_e32 v3, v3, v11, vcc
	v_add_u32_e32 v11, 1, v3
	v_cmp_le_u32_e32 vcc, s18, v10
	v_cndmask_b32_e32 v12, v3, v11, vcc
.LBB0_7:                                ;   in Loop: Header=BB0_2 Depth=1
	s_or_b64 exec, exec, s[0:1]
	v_or_b32_e32 v3, s17, v13
	v_cmp_ne_u64_e32 vcc, 0, v[2:3]
                                        ; implicit-def: $vgpr10_vgpr11
	s_and_saveexec_b64 s[0:1], vcc
	s_xor_b64 s[28:29], exec, s[0:1]
	s_cbranch_execz .LBB0_9
; %bb.8:                                ;   in Loop: Header=BB0_2 Depth=1
	s_ashr_i32 s30, s17, 31
	s_add_u32 s0, s16, s30
	s_mov_b32 s31, s30
	s_addc_u32 s1, s17, s30
	s_xor_b64 s[34:35], s[0:1], s[30:31]
	v_cvt_f32_u32_e32 v3, s34
	v_cvt_f32_u32_e32 v10, s35
	s_sub_u32 s13, 0, s34
	s_subb_u32 s21, 0, s35
	v_mac_f32_e32 v3, 0x4f800000, v10
	v_rcp_f32_e32 v3, v3
	v_mul_f32_e32 v3, 0x5f7ffffc, v3
	v_mul_f32_e32 v10, 0x2f800000, v3
	v_trunc_f32_e32 v10, v10
	v_mac_f32_e32 v3, 0xcf800000, v10
	v_cvt_u32_f32_e32 v10, v10
	v_cvt_u32_f32_e32 v3, v3
	v_readfirstlane_b32 s31, v10
	v_readfirstlane_b32 s0, v3
	s_mul_i32 s1, s13, s31
	s_mul_hi_u32 s38, s13, s0
	s_mul_i32 s37, s21, s0
	s_add_i32 s1, s38, s1
	s_add_i32 s1, s1, s37
	s_mul_i32 s39, s13, s0
	s_mul_i32 s38, s0, s1
	s_mul_hi_u32 s40, s0, s39
	s_mul_hi_u32 s37, s0, s1
	s_add_u32 s38, s40, s38
	s_addc_u32 s37, 0, s37
	s_mul_hi_u32 s41, s31, s39
	s_mul_i32 s39, s31, s39
	s_add_u32 s38, s38, s39
	s_mul_hi_u32 s40, s31, s1
	s_addc_u32 s37, s37, s41
	s_addc_u32 s38, s40, 0
	s_mul_i32 s1, s31, s1
	s_add_u32 s1, s37, s1
	s_addc_u32 s37, 0, s38
	s_add_u32 s38, s0, s1
	s_cselect_b64 s[0:1], -1, 0
	s_cmp_lg_u64 s[0:1], 0
	s_addc_u32 s31, s31, s37
	s_mul_i32 s0, s13, s31
	s_mul_hi_u32 s1, s13, s38
	s_add_i32 s0, s1, s0
	s_mul_i32 s21, s21, s38
	s_add_i32 s0, s0, s21
	s_mul_i32 s13, s13, s38
	s_mul_hi_u32 s21, s31, s13
	s_mul_i32 s37, s31, s13
	s_mul_i32 s40, s38, s0
	s_mul_hi_u32 s13, s38, s13
	s_mul_hi_u32 s39, s38, s0
	s_add_u32 s13, s13, s40
	s_addc_u32 s39, 0, s39
	s_add_u32 s13, s13, s37
	s_mul_hi_u32 s1, s31, s0
	s_addc_u32 s13, s39, s21
	s_addc_u32 s1, s1, 0
	s_mul_i32 s0, s31, s0
	s_add_u32 s0, s13, s0
	s_addc_u32 s13, 0, s1
	s_add_u32 s21, s38, s0
	s_cselect_b64 s[0:1], -1, 0
	v_ashrrev_i32_e32 v3, 31, v13
	s_cmp_lg_u64 s[0:1], 0
	v_add_co_u32_e32 v10, vcc, v12, v3
	s_addc_u32 s13, s31, s13
	v_xor_b32_e32 v16, v10, v3
	v_addc_co_u32_e32 v12, vcc, v13, v3, vcc
	v_mad_u64_u32 v[10:11], s[0:1], v16, s13, 0
	v_mul_hi_u32 v13, v16, s21
	v_xor_b32_e32 v17, v12, v3
	v_xor_b32_e32 v3, s30, v3
	v_add_co_u32_e32 v18, vcc, v13, v10
	v_addc_co_u32_e32 v19, vcc, 0, v11, vcc
	v_mad_u64_u32 v[10:11], s[0:1], v17, s21, 0
	v_mad_u64_u32 v[12:13], s[0:1], v17, s13, 0
	v_add_co_u32_e32 v10, vcc, v18, v10
	v_addc_co_u32_e32 v10, vcc, v19, v11, vcc
	v_addc_co_u32_e32 v11, vcc, 0, v13, vcc
	v_add_co_u32_e32 v12, vcc, v10, v12
	v_addc_co_u32_e32 v13, vcc, 0, v11, vcc
	v_mul_lo_u32 v18, s35, v12
	v_mul_lo_u32 v19, s34, v13
	v_mad_u64_u32 v[10:11], s[0:1], s34, v12, 0
	v_add3_u32 v11, v11, v19, v18
	v_sub_u32_e32 v18, v17, v11
	v_mov_b32_e32 v19, s35
	v_sub_co_u32_e32 v10, vcc, v16, v10
	v_subb_co_u32_e64 v16, s[0:1], v18, v19, vcc
	v_subrev_co_u32_e64 v18, s[0:1], s34, v10
	v_subbrev_co_u32_e64 v16, s[0:1], 0, v16, s[0:1]
	v_cmp_le_u32_e64 s[0:1], s35, v16
	v_cndmask_b32_e64 v19, 0, -1, s[0:1]
	v_cmp_le_u32_e64 s[0:1], s34, v18
	v_cndmask_b32_e64 v18, 0, -1, s[0:1]
	v_cmp_eq_u32_e64 s[0:1], s35, v16
	v_cndmask_b32_e64 v16, v19, v18, s[0:1]
	v_add_co_u32_e64 v18, s[0:1], 2, v12
	v_subb_co_u32_e32 v11, vcc, v17, v11, vcc
	v_addc_co_u32_e64 v19, s[0:1], 0, v13, s[0:1]
	v_cmp_le_u32_e32 vcc, s35, v11
	v_add_co_u32_e64 v20, s[0:1], 1, v12
	v_cndmask_b32_e64 v17, 0, -1, vcc
	v_cmp_le_u32_e32 vcc, s34, v10
	v_addc_co_u32_e64 v21, s[0:1], 0, v13, s[0:1]
	v_cndmask_b32_e64 v10, 0, -1, vcc
	v_cmp_eq_u32_e32 vcc, s35, v11
	v_cmp_ne_u32_e64 s[0:1], 0, v16
	v_cndmask_b32_e32 v10, v17, v10, vcc
	v_cndmask_b32_e64 v16, v21, v19, s[0:1]
	v_cmp_ne_u32_e32 vcc, 0, v10
	v_cndmask_b32_e64 v11, v20, v18, s[0:1]
	v_cndmask_b32_e32 v10, v13, v16, vcc
	v_cndmask_b32_e32 v11, v12, v11, vcc
	v_xor_b32_e32 v12, v10, v3
	v_xor_b32_e32 v10, v11, v3
	v_sub_co_u32_e32 v10, vcc, v10, v3
	v_subb_co_u32_e32 v11, vcc, v12, v3, vcc
                                        ; implicit-def: $vgpr12_vgpr13
.LBB0_9:                                ;   in Loop: Header=BB0_2 Depth=1
	s_andn2_saveexec_b64 s[0:1], s[28:29]
	s_cbranch_execz .LBB0_11
; %bb.10:                               ;   in Loop: Header=BB0_2 Depth=1
	v_cvt_f32_u32_e32 v3, s16
	s_sub_i32 s13, 0, s16
	v_rcp_iflag_f32_e32 v3, v3
	v_mul_f32_e32 v3, 0x4f7ffffe, v3
	v_cvt_u32_f32_e32 v3, v3
	v_mul_lo_u32 v10, s13, v3
	v_mul_hi_u32 v10, v3, v10
	v_add_u32_e32 v3, v3, v10
	v_mul_hi_u32 v3, v12, v3
	v_mul_lo_u32 v10, v3, s16
	v_add_u32_e32 v11, 1, v3
	v_sub_u32_e32 v10, v12, v10
	v_subrev_u32_e32 v12, s16, v10
	v_cmp_le_u32_e32 vcc, s16, v10
	v_cndmask_b32_e32 v10, v10, v12, vcc
	v_cndmask_b32_e32 v3, v3, v11, vcc
	v_add_u32_e32 v11, 1, v3
	v_cmp_le_u32_e32 vcc, s16, v10
	v_cndmask_b32_e32 v10, v3, v11, vcc
	v_mov_b32_e32 v11, v2
.LBB0_11:                               ;   in Loop: Header=BB0_2 Depth=1
	s_or_b64 exec, exec, s[0:1]
	v_or_b32_e32 v3, s15, v11
	v_cmp_ne_u64_e32 vcc, 0, v[2:3]
                                        ; implicit-def: $vgpr12_vgpr13
	s_and_saveexec_b64 s[0:1], vcc
	s_xor_b64 s[28:29], exec, s[0:1]
	s_cbranch_execz .LBB0_13
; %bb.12:                               ;   in Loop: Header=BB0_2 Depth=1
	s_ashr_i32 s30, s15, 31
	s_add_u32 s0, s14, s30
	s_mov_b32 s31, s30
	s_addc_u32 s1, s15, s30
	s_xor_b64 s[34:35], s[0:1], s[30:31]
	v_cvt_f32_u32_e32 v3, s34
	v_cvt_f32_u32_e32 v12, s35
	s_sub_u32 s13, 0, s34
	s_subb_u32 s21, 0, s35
	v_mac_f32_e32 v3, 0x4f800000, v12
	v_rcp_f32_e32 v3, v3
	v_mul_f32_e32 v3, 0x5f7ffffc, v3
	v_mul_f32_e32 v12, 0x2f800000, v3
	v_trunc_f32_e32 v12, v12
	v_mac_f32_e32 v3, 0xcf800000, v12
	v_cvt_u32_f32_e32 v12, v12
	v_cvt_u32_f32_e32 v3, v3
	v_readfirstlane_b32 s31, v12
	v_readfirstlane_b32 s0, v3
	s_mul_i32 s1, s13, s31
	s_mul_hi_u32 s38, s13, s0
	s_mul_i32 s37, s21, s0
	s_add_i32 s1, s38, s1
	s_add_i32 s1, s1, s37
	s_mul_i32 s39, s13, s0
	s_mul_i32 s38, s0, s1
	s_mul_hi_u32 s40, s0, s39
	s_mul_hi_u32 s37, s0, s1
	s_add_u32 s38, s40, s38
	s_addc_u32 s37, 0, s37
	s_mul_hi_u32 s41, s31, s39
	s_mul_i32 s39, s31, s39
	s_add_u32 s38, s38, s39
	s_mul_hi_u32 s40, s31, s1
	s_addc_u32 s37, s37, s41
	s_addc_u32 s38, s40, 0
	s_mul_i32 s1, s31, s1
	s_add_u32 s1, s37, s1
	s_addc_u32 s37, 0, s38
	s_add_u32 s38, s0, s1
	s_cselect_b64 s[0:1], -1, 0
	s_cmp_lg_u64 s[0:1], 0
	s_addc_u32 s31, s31, s37
	s_mul_i32 s0, s13, s31
	s_mul_hi_u32 s1, s13, s38
	s_add_i32 s0, s1, s0
	s_mul_i32 s21, s21, s38
	s_add_i32 s0, s0, s21
	s_mul_i32 s13, s13, s38
	s_mul_hi_u32 s21, s31, s13
	s_mul_i32 s37, s31, s13
	s_mul_i32 s40, s38, s0
	s_mul_hi_u32 s13, s38, s13
	s_mul_hi_u32 s39, s38, s0
	s_add_u32 s13, s13, s40
	s_addc_u32 s39, 0, s39
	s_add_u32 s13, s13, s37
	s_mul_hi_u32 s1, s31, s0
	s_addc_u32 s13, s39, s21
	s_addc_u32 s1, s1, 0
	s_mul_i32 s0, s31, s0
	s_add_u32 s0, s13, s0
	s_addc_u32 s13, 0, s1
	s_add_u32 s21, s38, s0
	s_cselect_b64 s[0:1], -1, 0
	v_ashrrev_i32_e32 v3, 31, v11
	s_cmp_lg_u64 s[0:1], 0
	v_add_co_u32_e32 v12, vcc, v10, v3
	s_addc_u32 s13, s31, s13
	v_xor_b32_e32 v18, v12, v3
	v_addc_co_u32_e32 v13, vcc, v11, v3, vcc
	v_mad_u64_u32 v[11:12], s[0:1], v18, s13, 0
	v_mul_hi_u32 v16, v18, s21
	v_xor_b32_e32 v13, v13, v3
	v_xor_b32_e32 v3, s30, v3
	v_add_co_u32_e32 v19, vcc, v16, v11
	v_addc_co_u32_e32 v20, vcc, 0, v12, vcc
	v_mad_u64_u32 v[11:12], s[0:1], v13, s21, 0
	v_mad_u64_u32 v[16:17], s[0:1], v13, s13, 0
	v_add_co_u32_e32 v11, vcc, v19, v11
	v_addc_co_u32_e32 v11, vcc, v20, v12, vcc
	v_addc_co_u32_e32 v12, vcc, 0, v17, vcc
	v_add_co_u32_e32 v16, vcc, v11, v16
	v_addc_co_u32_e32 v11, vcc, 0, v12, vcc
	v_mul_lo_u32 v17, s35, v16
	v_mul_lo_u32 v19, s34, v11
	v_mad_u64_u32 v[11:12], s[0:1], s34, v16, 0
	v_add3_u32 v12, v12, v19, v17
	v_sub_u32_e32 v17, v13, v12
	v_mov_b32_e32 v19, s35
	v_sub_co_u32_e32 v11, vcc, v18, v11
	v_subb_co_u32_e64 v17, s[0:1], v17, v19, vcc
	v_subrev_co_u32_e64 v18, s[0:1], s34, v11
	v_subbrev_co_u32_e64 v17, s[0:1], 0, v17, s[0:1]
	v_cmp_le_u32_e64 s[0:1], s35, v17
	v_subb_co_u32_e32 v12, vcc, v13, v12, vcc
	v_cndmask_b32_e64 v19, 0, -1, s[0:1]
	v_cmp_le_u32_e64 s[0:1], s34, v18
	v_cmp_le_u32_e32 vcc, s35, v12
	v_cndmask_b32_e64 v18, 0, -1, s[0:1]
	v_cmp_eq_u32_e64 s[0:1], s35, v17
	v_cndmask_b32_e64 v13, 0, -1, vcc
	v_cmp_le_u32_e32 vcc, s34, v11
	v_cndmask_b32_e64 v17, v19, v18, s[0:1]
	v_cndmask_b32_e64 v11, 0, -1, vcc
	v_cmp_eq_u32_e32 vcc, s35, v12
	v_add_co_u32_e64 v18, s[0:1], 2, v16
	v_add_co_u32_e64 v19, s[0:1], 1, v16
	v_cndmask_b32_e32 v11, v13, v11, vcc
	v_cmp_ne_u32_e32 vcc, 0, v17
	v_cndmask_b32_e32 v12, v19, v18, vcc
	v_cmp_ne_u32_e32 vcc, 0, v11
	v_cndmask_b32_e32 v11, v16, v12, vcc
	v_xor_b32_e32 v11, v11, v3
	v_sub_co_u32_e32 v12, vcc, v11, v3
.LBB0_13:                               ;   in Loop: Header=BB0_2 Depth=1
	s_andn2_saveexec_b64 s[0:1], s[28:29]
	s_cbranch_execz .LBB0_15
; %bb.14:                               ;   in Loop: Header=BB0_2 Depth=1
	v_cvt_f32_u32_e32 v3, s14
	s_sub_i32 s13, 0, s14
	v_rcp_iflag_f32_e32 v3, v3
	v_mul_f32_e32 v3, 0x4f7ffffe, v3
	v_cvt_u32_f32_e32 v3, v3
	v_mul_lo_u32 v11, s13, v3
	v_mul_hi_u32 v11, v3, v11
	v_add_u32_e32 v3, v3, v11
	v_mul_hi_u32 v3, v10, v3
	v_mul_lo_u32 v11, v3, s14
	v_add_u32_e32 v12, 1, v3
	v_sub_u32_e32 v11, v10, v11
	v_subrev_u32_e32 v13, s14, v11
	v_cmp_le_u32_e32 vcc, s14, v11
	v_cndmask_b32_e32 v11, v11, v13, vcc
	v_cndmask_b32_e32 v3, v3, v12, vcc
	v_add_u32_e32 v12, 1, v3
	v_cmp_le_u32_e32 vcc, s14, v11
	v_cndmask_b32_e32 v12, v3, v12, vcc
.LBB0_15:                               ;   in Loop: Header=BB0_2 Depth=1
	s_or_b64 exec, exec, s[0:1]
	v_mov_b32_e32 v3, s11
	v_add_co_u32_e32 v16, vcc, s10, v7
	v_addc_co_u32_e32 v17, vcc, v3, v15, vcc
	global_load_ubyte v3, v[16:17], off
	v_mul_lo_u32 v13, v12, s14
	v_ashrrev_i32_e32 v11, 31, v12
	v_mul_lo_u32 v17, v11, s14
	v_mul_lo_u32 v15, v12, s15
	v_sub_u32_e32 v10, v10, v13
	v_ashrrev_i32_e32 v11, 31, v10
	v_mad_u64_u32 v[10:11], s[0:1], v12, s14, v[10:11]
	v_add_co_u32_e32 v0, vcc, s33, v0
	v_add3_u32 v11, v17, v11, v15
	v_mul_lo_u32 v12, s3, v10
	v_mad_u64_u32 v[4:5], s[0:1], s2, v10, v[4:5]
	v_mul_lo_u32 v10, s2, v11
	v_addc_co_u32_e32 v1, vcc, 0, v1, vcc
	v_mov_b32_e32 v16, s36
	v_cmp_le_i64_e32 vcc, s[8:9], v[0:1]
	v_add_co_u32_e64 v6, s[0:1], 0, v6
	v_addc_co_u32_e64 v7, s[0:1], v7, v16, s[0:1]
	s_andn2_b64 s[24:25], s[24:25], exec
	s_and_b64 s[0:1], vcc, exec
	v_add3_u32 v5, v12, v5, v10
	v_add_co_u32_e32 v8, vcc, v4, v8
	s_andn2_b64 s[22:23], s[22:23], exec
	v_addc_co_u32_e32 v9, vcc, v5, v9, vcc
	s_or_b64 s[24:25], s[24:25], s[0:1]
	s_waitcnt vmcnt(0)
	global_store_byte v[8:9], v3, off
.LBB0_16:                               ;   in Loop: Header=BB0_2 Depth=1
	s_or_b64 exec, exec, s[26:27]
	s_and_b64 s[0:1], exec, s[24:25]
	s_or_b64 s[4:5], s[0:1], s[4:5]
	s_andn2_b64 s[0:1], s[6:7], exec
	s_and_b64 s[6:7], s[22:23], exec
	s_or_b64 s[6:7], s[0:1], s[6:7]
	s_andn2_b64 exec, exec, s[4:5]
	s_cbranch_execnz .LBB0_2
; %bb.17:
	s_or_b64 exec, exec, s[4:5]
	s_and_saveexec_b64 s[0:1], s[6:7]
	s_xor_b64 s[0:1], exec, s[0:1]
	s_cbranch_execnz .LBB0_19
.LBB0_18:
	s_endpgm
.LBB0_19:
	s_trap 2
	; divergent unreachable
	s_endpgm
	.section	.rodata,"a",@progbits
	.p2align	6, 0x0
	.amdhsa_kernel _ZN2at6native30max_unpooling2d_forward_kernelIhEEvlPKT_PKllllllPS2_
		.amdhsa_group_segment_fixed_size 0
		.amdhsa_private_segment_fixed_size 0
		.amdhsa_kernarg_size 328
		.amdhsa_user_sgpr_count 6
		.amdhsa_user_sgpr_private_segment_buffer 1
		.amdhsa_user_sgpr_dispatch_ptr 0
		.amdhsa_user_sgpr_queue_ptr 0
		.amdhsa_user_sgpr_kernarg_segment_ptr 1
		.amdhsa_user_sgpr_dispatch_id 0
		.amdhsa_user_sgpr_flat_scratch_init 0
		.amdhsa_user_sgpr_private_segment_size 0
		.amdhsa_uses_dynamic_stack 0
		.amdhsa_system_sgpr_private_segment_wavefront_offset 0
		.amdhsa_system_sgpr_workgroup_id_x 1
		.amdhsa_system_sgpr_workgroup_id_y 0
		.amdhsa_system_sgpr_workgroup_id_z 0
		.amdhsa_system_sgpr_workgroup_info 0
		.amdhsa_system_vgpr_workitem_id 0
		.amdhsa_next_free_vgpr 22
		.amdhsa_next_free_sgpr 42
		.amdhsa_reserve_vcc 1
		.amdhsa_reserve_flat_scratch 0
		.amdhsa_float_round_mode_32 0
		.amdhsa_float_round_mode_16_64 0
		.amdhsa_float_denorm_mode_32 3
		.amdhsa_float_denorm_mode_16_64 3
		.amdhsa_dx10_clamp 1
		.amdhsa_ieee_mode 1
		.amdhsa_fp16_overflow 0
		.amdhsa_exception_fp_ieee_invalid_op 0
		.amdhsa_exception_fp_denorm_src 0
		.amdhsa_exception_fp_ieee_div_zero 0
		.amdhsa_exception_fp_ieee_overflow 0
		.amdhsa_exception_fp_ieee_underflow 0
		.amdhsa_exception_fp_ieee_inexact 0
		.amdhsa_exception_int_div_zero 0
	.end_amdhsa_kernel
	.section	.text._ZN2at6native30max_unpooling2d_forward_kernelIhEEvlPKT_PKllllllPS2_,"axG",@progbits,_ZN2at6native30max_unpooling2d_forward_kernelIhEEvlPKT_PKllllllPS2_,comdat
.Lfunc_end0:
	.size	_ZN2at6native30max_unpooling2d_forward_kernelIhEEvlPKT_PKllllllPS2_, .Lfunc_end0-_ZN2at6native30max_unpooling2d_forward_kernelIhEEvlPKT_PKllllllPS2_
                                        ; -- End function
	.set _ZN2at6native30max_unpooling2d_forward_kernelIhEEvlPKT_PKllllllPS2_.num_vgpr, 22
	.set _ZN2at6native30max_unpooling2d_forward_kernelIhEEvlPKT_PKllllllPS2_.num_agpr, 0
	.set _ZN2at6native30max_unpooling2d_forward_kernelIhEEvlPKT_PKllllllPS2_.numbered_sgpr, 42
	.set _ZN2at6native30max_unpooling2d_forward_kernelIhEEvlPKT_PKllllllPS2_.num_named_barrier, 0
	.set _ZN2at6native30max_unpooling2d_forward_kernelIhEEvlPKT_PKllllllPS2_.private_seg_size, 0
	.set _ZN2at6native30max_unpooling2d_forward_kernelIhEEvlPKT_PKllllllPS2_.uses_vcc, 1
	.set _ZN2at6native30max_unpooling2d_forward_kernelIhEEvlPKT_PKllllllPS2_.uses_flat_scratch, 0
	.set _ZN2at6native30max_unpooling2d_forward_kernelIhEEvlPKT_PKllllllPS2_.has_dyn_sized_stack, 0
	.set _ZN2at6native30max_unpooling2d_forward_kernelIhEEvlPKT_PKllllllPS2_.has_recursion, 0
	.set _ZN2at6native30max_unpooling2d_forward_kernelIhEEvlPKT_PKllllllPS2_.has_indirect_call, 0
	.section	.AMDGPU.csdata,"",@progbits
; Kernel info:
; codeLenInByte = 2612
; TotalNumSgprs: 46
; NumVgprs: 22
; ScratchSize: 0
; MemoryBound: 0
; FloatMode: 240
; IeeeMode: 1
; LDSByteSize: 0 bytes/workgroup (compile time only)
; SGPRBlocks: 5
; VGPRBlocks: 5
; NumSGPRsForWavesPerEU: 46
; NumVGPRsForWavesPerEU: 22
; Occupancy: 10
; WaveLimiterHint : 1
; COMPUTE_PGM_RSRC2:SCRATCH_EN: 0
; COMPUTE_PGM_RSRC2:USER_SGPR: 6
; COMPUTE_PGM_RSRC2:TRAP_HANDLER: 0
; COMPUTE_PGM_RSRC2:TGID_X_EN: 1
; COMPUTE_PGM_RSRC2:TGID_Y_EN: 0
; COMPUTE_PGM_RSRC2:TGID_Z_EN: 0
; COMPUTE_PGM_RSRC2:TIDIG_COMP_CNT: 0
	.section	.text._ZN2at6native30max_unpooling2d_forward_kernelIaEEvlPKT_PKllllllPS2_,"axG",@progbits,_ZN2at6native30max_unpooling2d_forward_kernelIaEEvlPKT_PKllllllPS2_,comdat
	.protected	_ZN2at6native30max_unpooling2d_forward_kernelIaEEvlPKT_PKllllllPS2_ ; -- Begin function _ZN2at6native30max_unpooling2d_forward_kernelIaEEvlPKT_PKllllllPS2_
	.globl	_ZN2at6native30max_unpooling2d_forward_kernelIaEEvlPKT_PKllllllPS2_
	.p2align	8
	.type	_ZN2at6native30max_unpooling2d_forward_kernelIaEEvlPKT_PKllllllPS2_,@function
_ZN2at6native30max_unpooling2d_forward_kernelIaEEvlPKT_PKllllllPS2_: ; @_ZN2at6native30max_unpooling2d_forward_kernelIaEEvlPKT_PKllllllPS2_
; %bb.0:
	s_load_dword s2, s[4:5], 0x54
	s_load_dwordx16 s[8:23], s[4:5], 0x0
	s_add_u32 s0, s4, 0x48
	v_mov_b32_e32 v2, 0
	s_addc_u32 s1, s5, 0
	s_waitcnt lgkmcnt(0)
	s_and_b32 s7, s2, 0xffff
	v_mov_b32_e32 v1, v2
	v_mov_b32_e32 v3, s6
	v_mad_u64_u32 v[0:1], s[2:3], s7, v3, v[0:1]
	v_cmp_gt_i64_e32 vcc, s[8:9], v[0:1]
	s_and_saveexec_b64 s[2:3], vcc
	s_cbranch_execz .LBB1_18
; %bb.1:
	s_load_dwordx2 s[24:25], s[4:5], 0x40
	s_mul_i32 s2, s22, s21
	s_load_dword s0, s[0:1], 0x0
	s_mul_hi_u32 s3, s22, s20
	v_mov_b32_e32 v3, v0
	s_add_i32 s1, s3, s2
	s_mul_i32 s2, s23, s20
	s_waitcnt lgkmcnt(0)
	s_mul_i32 s33, s0, s7
	v_mov_b32_e32 v4, s24
	v_mov_b32_e32 v7, v3
	s_add_i32 s3, s1, s2
	s_mul_i32 s2, s22, s20
	s_mov_b32 s36, s33
	s_mov_b64 s[4:5], 0
	v_mov_b32_e32 v5, s25
	v_mov_b32_e32 v14, s13
	s_ashr_i32 s20, s19, 31
	v_mov_b32_e32 v6, v2
                                        ; implicit-def: $sgpr6_sgpr7
                                        ; implicit-def: $sgpr24_sgpr25
                                        ; implicit-def: $sgpr22_sgpr23
.LBB1_2:                                ; =>This Inner Loop Header: Depth=1
	v_ashrrev_i64 v[8:9], 29, v[6:7]
	s_or_b64 s[22:23], s[22:23], exec
	v_add_co_u32_e32 v8, vcc, s12, v8
	v_addc_co_u32_e32 v9, vcc, v14, v9, vcc
	global_load_dwordx2 v[8:9], v[8:9], off
	s_or_b64 s[24:25], s[24:25], exec
	s_waitcnt vmcnt(0)
	v_ashrrev_i32_e32 v9, 31, v8
	v_cmp_gt_i64_e32 vcc, s[2:3], v[8:9]
	v_cmp_lt_i32_e64 s[0:1], -1, v8
	s_and_b64 s[0:1], s[0:1], vcc
	s_and_saveexec_b64 s[26:27], s[0:1]
	s_cbranch_execz .LBB1_16
; %bb.3:                                ;   in Loop: Header=BB1_2 Depth=1
	v_ashrrev_i32_e32 v15, 31, v7
	v_or_b32_e32 v3, s19, v15
	v_cmp_ne_u64_e32 vcc, 0, v[2:3]
                                        ; implicit-def: $vgpr12_vgpr13
	s_and_saveexec_b64 s[0:1], vcc
	s_xor_b64 s[28:29], exec, s[0:1]
	s_cbranch_execz .LBB1_5
; %bb.4:                                ;   in Loop: Header=BB1_2 Depth=1
	s_add_u32 s0, s18, s20
	s_mov_b32 s21, s20
	s_addc_u32 s1, s19, s20
	s_xor_b64 s[30:31], s[0:1], s[20:21]
	v_cvt_f32_u32_e32 v3, s30
	v_cvt_f32_u32_e32 v10, s31
	s_sub_u32 s13, 0, s30
	s_subb_u32 s21, 0, s31
	v_mac_f32_e32 v3, 0x4f800000, v10
	v_rcp_f32_e32 v3, v3
	v_mul_f32_e32 v3, 0x5f7ffffc, v3
	v_mul_f32_e32 v10, 0x2f800000, v3
	v_trunc_f32_e32 v10, v10
	v_mac_f32_e32 v3, 0xcf800000, v10
	v_cvt_u32_f32_e32 v10, v10
	v_cvt_u32_f32_e32 v3, v3
	v_readfirstlane_b32 s34, v10
	v_readfirstlane_b32 s0, v3
	s_mul_i32 s1, s13, s34
	s_mul_hi_u32 s37, s13, s0
	s_mul_i32 s35, s21, s0
	s_add_i32 s1, s37, s1
	s_add_i32 s1, s1, s35
	s_mul_i32 s38, s13, s0
	s_mul_i32 s37, s0, s1
	s_mul_hi_u32 s39, s0, s38
	s_mul_hi_u32 s35, s0, s1
	s_add_u32 s37, s39, s37
	s_addc_u32 s35, 0, s35
	s_mul_hi_u32 s40, s34, s38
	s_mul_i32 s38, s34, s38
	s_add_u32 s37, s37, s38
	s_mul_hi_u32 s39, s34, s1
	s_addc_u32 s35, s35, s40
	s_addc_u32 s37, s39, 0
	s_mul_i32 s1, s34, s1
	s_add_u32 s1, s35, s1
	s_addc_u32 s35, 0, s37
	s_add_u32 s37, s0, s1
	s_cselect_b64 s[0:1], -1, 0
	s_cmp_lg_u64 s[0:1], 0
	s_addc_u32 s34, s34, s35
	s_mul_i32 s0, s13, s34
	s_mul_hi_u32 s1, s13, s37
	s_add_i32 s0, s1, s0
	s_mul_i32 s21, s21, s37
	s_add_i32 s0, s0, s21
	s_mul_i32 s13, s13, s37
	s_mul_hi_u32 s21, s34, s13
	s_mul_i32 s35, s34, s13
	s_mul_i32 s39, s37, s0
	s_mul_hi_u32 s13, s37, s13
	s_mul_hi_u32 s38, s37, s0
	s_add_u32 s13, s13, s39
	s_addc_u32 s38, 0, s38
	s_add_u32 s13, s13, s35
	s_mul_hi_u32 s1, s34, s0
	s_addc_u32 s13, s38, s21
	s_addc_u32 s1, s1, 0
	s_mul_i32 s0, s34, s0
	s_add_u32 s0, s13, s0
	s_addc_u32 s13, 0, s1
	s_add_u32 s21, s37, s0
	s_cselect_b64 s[0:1], -1, 0
	v_ashrrev_i32_e32 v3, 31, v15
	s_cmp_lg_u64 s[0:1], 0
	v_add_co_u32_e32 v10, vcc, v7, v3
	s_addc_u32 s13, s34, s13
	v_xor_b32_e32 v16, v10, v3
	v_mad_u64_u32 v[10:11], s[0:1], v16, s13, 0
	v_mul_hi_u32 v13, v16, s21
	v_addc_co_u32_e32 v12, vcc, v15, v3, vcc
	v_xor_b32_e32 v17, v12, v3
	v_add_co_u32_e32 v18, vcc, v13, v10
	v_addc_co_u32_e32 v19, vcc, 0, v11, vcc
	v_mad_u64_u32 v[10:11], s[0:1], v17, s21, 0
	v_mad_u64_u32 v[12:13], s[0:1], v17, s13, 0
	v_add_co_u32_e32 v10, vcc, v18, v10
	v_addc_co_u32_e32 v10, vcc, v19, v11, vcc
	v_addc_co_u32_e32 v11, vcc, 0, v13, vcc
	v_add_co_u32_e32 v12, vcc, v10, v12
	v_addc_co_u32_e32 v13, vcc, 0, v11, vcc
	v_mul_lo_u32 v18, s31, v12
	v_mul_lo_u32 v19, s30, v13
	v_mad_u64_u32 v[10:11], s[0:1], s30, v12, 0
	v_xor_b32_e32 v3, s20, v3
	v_add3_u32 v11, v11, v19, v18
	v_sub_u32_e32 v18, v17, v11
	v_mov_b32_e32 v19, s31
	v_sub_co_u32_e32 v10, vcc, v16, v10
	v_subb_co_u32_e64 v16, s[0:1], v18, v19, vcc
	v_subrev_co_u32_e64 v18, s[0:1], s30, v10
	v_subbrev_co_u32_e64 v16, s[0:1], 0, v16, s[0:1]
	v_cmp_le_u32_e64 s[0:1], s31, v16
	v_cndmask_b32_e64 v19, 0, -1, s[0:1]
	v_cmp_le_u32_e64 s[0:1], s30, v18
	v_cndmask_b32_e64 v18, 0, -1, s[0:1]
	v_cmp_eq_u32_e64 s[0:1], s31, v16
	v_cndmask_b32_e64 v16, v19, v18, s[0:1]
	v_add_co_u32_e64 v18, s[0:1], 2, v12
	v_subb_co_u32_e32 v11, vcc, v17, v11, vcc
	v_addc_co_u32_e64 v19, s[0:1], 0, v13, s[0:1]
	v_cmp_le_u32_e32 vcc, s31, v11
	v_add_co_u32_e64 v20, s[0:1], 1, v12
	v_cndmask_b32_e64 v17, 0, -1, vcc
	v_cmp_le_u32_e32 vcc, s30, v10
	v_addc_co_u32_e64 v21, s[0:1], 0, v13, s[0:1]
	v_cndmask_b32_e64 v10, 0, -1, vcc
	v_cmp_eq_u32_e32 vcc, s31, v11
	v_cmp_ne_u32_e64 s[0:1], 0, v16
	v_cndmask_b32_e32 v10, v17, v10, vcc
	v_cmp_ne_u32_e32 vcc, 0, v10
	v_cndmask_b32_e64 v11, v20, v18, s[0:1]
	v_cndmask_b32_e64 v16, v21, v19, s[0:1]
	v_cndmask_b32_e32 v11, v12, v11, vcc
	v_cndmask_b32_e32 v10, v13, v16, vcc
	v_xor_b32_e32 v11, v11, v3
	v_xor_b32_e32 v10, v10, v3
	v_sub_co_u32_e32 v12, vcc, v11, v3
	v_subb_co_u32_e32 v13, vcc, v10, v3, vcc
.LBB1_5:                                ;   in Loop: Header=BB1_2 Depth=1
	s_andn2_saveexec_b64 s[0:1], s[28:29]
	s_cbranch_execz .LBB1_7
; %bb.6:                                ;   in Loop: Header=BB1_2 Depth=1
	v_cvt_f32_u32_e32 v3, s18
	s_sub_i32 s13, 0, s18
	v_mov_b32_e32 v13, v2
	v_rcp_iflag_f32_e32 v3, v3
	v_mul_f32_e32 v3, 0x4f7ffffe, v3
	v_cvt_u32_f32_e32 v3, v3
	v_mul_lo_u32 v10, s13, v3
	v_mul_hi_u32 v10, v3, v10
	v_add_u32_e32 v3, v3, v10
	v_mul_hi_u32 v3, v7, v3
	v_mul_lo_u32 v10, v3, s18
	v_add_u32_e32 v11, 1, v3
	v_sub_u32_e32 v10, v7, v10
	v_subrev_u32_e32 v12, s18, v10
	v_cmp_le_u32_e32 vcc, s18, v10
	v_cndmask_b32_e32 v10, v10, v12, vcc
	v_cndmask_b32_e32 v3, v3, v11, vcc
	v_add_u32_e32 v11, 1, v3
	v_cmp_le_u32_e32 vcc, s18, v10
	v_cndmask_b32_e32 v12, v3, v11, vcc
.LBB1_7:                                ;   in Loop: Header=BB1_2 Depth=1
	s_or_b64 exec, exec, s[0:1]
	v_or_b32_e32 v3, s17, v13
	v_cmp_ne_u64_e32 vcc, 0, v[2:3]
                                        ; implicit-def: $vgpr10_vgpr11
	s_and_saveexec_b64 s[0:1], vcc
	s_xor_b64 s[28:29], exec, s[0:1]
	s_cbranch_execz .LBB1_9
; %bb.8:                                ;   in Loop: Header=BB1_2 Depth=1
	s_ashr_i32 s30, s17, 31
	s_add_u32 s0, s16, s30
	s_mov_b32 s31, s30
	s_addc_u32 s1, s17, s30
	s_xor_b64 s[34:35], s[0:1], s[30:31]
	v_cvt_f32_u32_e32 v3, s34
	v_cvt_f32_u32_e32 v10, s35
	s_sub_u32 s13, 0, s34
	s_subb_u32 s21, 0, s35
	v_mac_f32_e32 v3, 0x4f800000, v10
	v_rcp_f32_e32 v3, v3
	v_mul_f32_e32 v3, 0x5f7ffffc, v3
	v_mul_f32_e32 v10, 0x2f800000, v3
	v_trunc_f32_e32 v10, v10
	v_mac_f32_e32 v3, 0xcf800000, v10
	v_cvt_u32_f32_e32 v10, v10
	v_cvt_u32_f32_e32 v3, v3
	v_readfirstlane_b32 s31, v10
	v_readfirstlane_b32 s0, v3
	s_mul_i32 s1, s13, s31
	s_mul_hi_u32 s38, s13, s0
	s_mul_i32 s37, s21, s0
	s_add_i32 s1, s38, s1
	s_add_i32 s1, s1, s37
	s_mul_i32 s39, s13, s0
	s_mul_i32 s38, s0, s1
	s_mul_hi_u32 s40, s0, s39
	s_mul_hi_u32 s37, s0, s1
	s_add_u32 s38, s40, s38
	s_addc_u32 s37, 0, s37
	s_mul_hi_u32 s41, s31, s39
	s_mul_i32 s39, s31, s39
	s_add_u32 s38, s38, s39
	s_mul_hi_u32 s40, s31, s1
	s_addc_u32 s37, s37, s41
	s_addc_u32 s38, s40, 0
	s_mul_i32 s1, s31, s1
	s_add_u32 s1, s37, s1
	s_addc_u32 s37, 0, s38
	s_add_u32 s38, s0, s1
	s_cselect_b64 s[0:1], -1, 0
	s_cmp_lg_u64 s[0:1], 0
	s_addc_u32 s31, s31, s37
	s_mul_i32 s0, s13, s31
	s_mul_hi_u32 s1, s13, s38
	s_add_i32 s0, s1, s0
	s_mul_i32 s21, s21, s38
	s_add_i32 s0, s0, s21
	s_mul_i32 s13, s13, s38
	s_mul_hi_u32 s21, s31, s13
	s_mul_i32 s37, s31, s13
	s_mul_i32 s40, s38, s0
	s_mul_hi_u32 s13, s38, s13
	s_mul_hi_u32 s39, s38, s0
	s_add_u32 s13, s13, s40
	s_addc_u32 s39, 0, s39
	s_add_u32 s13, s13, s37
	s_mul_hi_u32 s1, s31, s0
	s_addc_u32 s13, s39, s21
	s_addc_u32 s1, s1, 0
	s_mul_i32 s0, s31, s0
	s_add_u32 s0, s13, s0
	s_addc_u32 s13, 0, s1
	s_add_u32 s21, s38, s0
	s_cselect_b64 s[0:1], -1, 0
	v_ashrrev_i32_e32 v3, 31, v13
	s_cmp_lg_u64 s[0:1], 0
	v_add_co_u32_e32 v10, vcc, v12, v3
	s_addc_u32 s13, s31, s13
	v_xor_b32_e32 v16, v10, v3
	v_addc_co_u32_e32 v12, vcc, v13, v3, vcc
	v_mad_u64_u32 v[10:11], s[0:1], v16, s13, 0
	v_mul_hi_u32 v13, v16, s21
	v_xor_b32_e32 v17, v12, v3
	v_xor_b32_e32 v3, s30, v3
	v_add_co_u32_e32 v18, vcc, v13, v10
	v_addc_co_u32_e32 v19, vcc, 0, v11, vcc
	v_mad_u64_u32 v[10:11], s[0:1], v17, s21, 0
	v_mad_u64_u32 v[12:13], s[0:1], v17, s13, 0
	v_add_co_u32_e32 v10, vcc, v18, v10
	v_addc_co_u32_e32 v10, vcc, v19, v11, vcc
	v_addc_co_u32_e32 v11, vcc, 0, v13, vcc
	v_add_co_u32_e32 v12, vcc, v10, v12
	v_addc_co_u32_e32 v13, vcc, 0, v11, vcc
	v_mul_lo_u32 v18, s35, v12
	v_mul_lo_u32 v19, s34, v13
	v_mad_u64_u32 v[10:11], s[0:1], s34, v12, 0
	v_add3_u32 v11, v11, v19, v18
	v_sub_u32_e32 v18, v17, v11
	v_mov_b32_e32 v19, s35
	v_sub_co_u32_e32 v10, vcc, v16, v10
	v_subb_co_u32_e64 v16, s[0:1], v18, v19, vcc
	v_subrev_co_u32_e64 v18, s[0:1], s34, v10
	v_subbrev_co_u32_e64 v16, s[0:1], 0, v16, s[0:1]
	v_cmp_le_u32_e64 s[0:1], s35, v16
	v_cndmask_b32_e64 v19, 0, -1, s[0:1]
	v_cmp_le_u32_e64 s[0:1], s34, v18
	v_cndmask_b32_e64 v18, 0, -1, s[0:1]
	v_cmp_eq_u32_e64 s[0:1], s35, v16
	v_cndmask_b32_e64 v16, v19, v18, s[0:1]
	v_add_co_u32_e64 v18, s[0:1], 2, v12
	v_subb_co_u32_e32 v11, vcc, v17, v11, vcc
	v_addc_co_u32_e64 v19, s[0:1], 0, v13, s[0:1]
	v_cmp_le_u32_e32 vcc, s35, v11
	v_add_co_u32_e64 v20, s[0:1], 1, v12
	v_cndmask_b32_e64 v17, 0, -1, vcc
	v_cmp_le_u32_e32 vcc, s34, v10
	v_addc_co_u32_e64 v21, s[0:1], 0, v13, s[0:1]
	v_cndmask_b32_e64 v10, 0, -1, vcc
	v_cmp_eq_u32_e32 vcc, s35, v11
	v_cmp_ne_u32_e64 s[0:1], 0, v16
	v_cndmask_b32_e32 v10, v17, v10, vcc
	v_cndmask_b32_e64 v16, v21, v19, s[0:1]
	v_cmp_ne_u32_e32 vcc, 0, v10
	v_cndmask_b32_e64 v11, v20, v18, s[0:1]
	v_cndmask_b32_e32 v10, v13, v16, vcc
	v_cndmask_b32_e32 v11, v12, v11, vcc
	v_xor_b32_e32 v12, v10, v3
	v_xor_b32_e32 v10, v11, v3
	v_sub_co_u32_e32 v10, vcc, v10, v3
	v_subb_co_u32_e32 v11, vcc, v12, v3, vcc
                                        ; implicit-def: $vgpr12_vgpr13
.LBB1_9:                                ;   in Loop: Header=BB1_2 Depth=1
	s_andn2_saveexec_b64 s[0:1], s[28:29]
	s_cbranch_execz .LBB1_11
; %bb.10:                               ;   in Loop: Header=BB1_2 Depth=1
	v_cvt_f32_u32_e32 v3, s16
	s_sub_i32 s13, 0, s16
	v_rcp_iflag_f32_e32 v3, v3
	v_mul_f32_e32 v3, 0x4f7ffffe, v3
	v_cvt_u32_f32_e32 v3, v3
	v_mul_lo_u32 v10, s13, v3
	v_mul_hi_u32 v10, v3, v10
	v_add_u32_e32 v3, v3, v10
	v_mul_hi_u32 v3, v12, v3
	v_mul_lo_u32 v10, v3, s16
	v_add_u32_e32 v11, 1, v3
	v_sub_u32_e32 v10, v12, v10
	v_subrev_u32_e32 v12, s16, v10
	v_cmp_le_u32_e32 vcc, s16, v10
	v_cndmask_b32_e32 v10, v10, v12, vcc
	v_cndmask_b32_e32 v3, v3, v11, vcc
	v_add_u32_e32 v11, 1, v3
	v_cmp_le_u32_e32 vcc, s16, v10
	v_cndmask_b32_e32 v10, v3, v11, vcc
	v_mov_b32_e32 v11, v2
.LBB1_11:                               ;   in Loop: Header=BB1_2 Depth=1
	s_or_b64 exec, exec, s[0:1]
	v_or_b32_e32 v3, s15, v11
	v_cmp_ne_u64_e32 vcc, 0, v[2:3]
                                        ; implicit-def: $vgpr12_vgpr13
	s_and_saveexec_b64 s[0:1], vcc
	s_xor_b64 s[28:29], exec, s[0:1]
	s_cbranch_execz .LBB1_13
; %bb.12:                               ;   in Loop: Header=BB1_2 Depth=1
	s_ashr_i32 s30, s15, 31
	s_add_u32 s0, s14, s30
	s_mov_b32 s31, s30
	s_addc_u32 s1, s15, s30
	s_xor_b64 s[34:35], s[0:1], s[30:31]
	v_cvt_f32_u32_e32 v3, s34
	v_cvt_f32_u32_e32 v12, s35
	s_sub_u32 s13, 0, s34
	s_subb_u32 s21, 0, s35
	v_mac_f32_e32 v3, 0x4f800000, v12
	v_rcp_f32_e32 v3, v3
	v_mul_f32_e32 v3, 0x5f7ffffc, v3
	v_mul_f32_e32 v12, 0x2f800000, v3
	v_trunc_f32_e32 v12, v12
	v_mac_f32_e32 v3, 0xcf800000, v12
	v_cvt_u32_f32_e32 v12, v12
	v_cvt_u32_f32_e32 v3, v3
	v_readfirstlane_b32 s31, v12
	v_readfirstlane_b32 s0, v3
	s_mul_i32 s1, s13, s31
	s_mul_hi_u32 s38, s13, s0
	s_mul_i32 s37, s21, s0
	s_add_i32 s1, s38, s1
	s_add_i32 s1, s1, s37
	s_mul_i32 s39, s13, s0
	s_mul_i32 s38, s0, s1
	s_mul_hi_u32 s40, s0, s39
	s_mul_hi_u32 s37, s0, s1
	s_add_u32 s38, s40, s38
	s_addc_u32 s37, 0, s37
	s_mul_hi_u32 s41, s31, s39
	s_mul_i32 s39, s31, s39
	s_add_u32 s38, s38, s39
	s_mul_hi_u32 s40, s31, s1
	s_addc_u32 s37, s37, s41
	s_addc_u32 s38, s40, 0
	s_mul_i32 s1, s31, s1
	s_add_u32 s1, s37, s1
	s_addc_u32 s37, 0, s38
	s_add_u32 s38, s0, s1
	s_cselect_b64 s[0:1], -1, 0
	s_cmp_lg_u64 s[0:1], 0
	s_addc_u32 s31, s31, s37
	s_mul_i32 s0, s13, s31
	s_mul_hi_u32 s1, s13, s38
	s_add_i32 s0, s1, s0
	s_mul_i32 s21, s21, s38
	s_add_i32 s0, s0, s21
	s_mul_i32 s13, s13, s38
	s_mul_hi_u32 s21, s31, s13
	s_mul_i32 s37, s31, s13
	s_mul_i32 s40, s38, s0
	s_mul_hi_u32 s13, s38, s13
	s_mul_hi_u32 s39, s38, s0
	s_add_u32 s13, s13, s40
	s_addc_u32 s39, 0, s39
	s_add_u32 s13, s13, s37
	s_mul_hi_u32 s1, s31, s0
	s_addc_u32 s13, s39, s21
	s_addc_u32 s1, s1, 0
	s_mul_i32 s0, s31, s0
	s_add_u32 s0, s13, s0
	s_addc_u32 s13, 0, s1
	s_add_u32 s21, s38, s0
	s_cselect_b64 s[0:1], -1, 0
	v_ashrrev_i32_e32 v3, 31, v11
	s_cmp_lg_u64 s[0:1], 0
	v_add_co_u32_e32 v12, vcc, v10, v3
	s_addc_u32 s13, s31, s13
	v_xor_b32_e32 v18, v12, v3
	v_addc_co_u32_e32 v13, vcc, v11, v3, vcc
	v_mad_u64_u32 v[11:12], s[0:1], v18, s13, 0
	v_mul_hi_u32 v16, v18, s21
	v_xor_b32_e32 v13, v13, v3
	v_xor_b32_e32 v3, s30, v3
	v_add_co_u32_e32 v19, vcc, v16, v11
	v_addc_co_u32_e32 v20, vcc, 0, v12, vcc
	v_mad_u64_u32 v[11:12], s[0:1], v13, s21, 0
	v_mad_u64_u32 v[16:17], s[0:1], v13, s13, 0
	v_add_co_u32_e32 v11, vcc, v19, v11
	v_addc_co_u32_e32 v11, vcc, v20, v12, vcc
	v_addc_co_u32_e32 v12, vcc, 0, v17, vcc
	v_add_co_u32_e32 v16, vcc, v11, v16
	v_addc_co_u32_e32 v11, vcc, 0, v12, vcc
	v_mul_lo_u32 v17, s35, v16
	v_mul_lo_u32 v19, s34, v11
	v_mad_u64_u32 v[11:12], s[0:1], s34, v16, 0
	v_add3_u32 v12, v12, v19, v17
	v_sub_u32_e32 v17, v13, v12
	v_mov_b32_e32 v19, s35
	v_sub_co_u32_e32 v11, vcc, v18, v11
	v_subb_co_u32_e64 v17, s[0:1], v17, v19, vcc
	v_subrev_co_u32_e64 v18, s[0:1], s34, v11
	v_subbrev_co_u32_e64 v17, s[0:1], 0, v17, s[0:1]
	v_cmp_le_u32_e64 s[0:1], s35, v17
	v_subb_co_u32_e32 v12, vcc, v13, v12, vcc
	v_cndmask_b32_e64 v19, 0, -1, s[0:1]
	v_cmp_le_u32_e64 s[0:1], s34, v18
	v_cmp_le_u32_e32 vcc, s35, v12
	v_cndmask_b32_e64 v18, 0, -1, s[0:1]
	v_cmp_eq_u32_e64 s[0:1], s35, v17
	v_cndmask_b32_e64 v13, 0, -1, vcc
	v_cmp_le_u32_e32 vcc, s34, v11
	v_cndmask_b32_e64 v17, v19, v18, s[0:1]
	v_cndmask_b32_e64 v11, 0, -1, vcc
	v_cmp_eq_u32_e32 vcc, s35, v12
	v_add_co_u32_e64 v18, s[0:1], 2, v16
	v_add_co_u32_e64 v19, s[0:1], 1, v16
	v_cndmask_b32_e32 v11, v13, v11, vcc
	v_cmp_ne_u32_e32 vcc, 0, v17
	v_cndmask_b32_e32 v12, v19, v18, vcc
	v_cmp_ne_u32_e32 vcc, 0, v11
	v_cndmask_b32_e32 v11, v16, v12, vcc
	v_xor_b32_e32 v11, v11, v3
	v_sub_co_u32_e32 v12, vcc, v11, v3
.LBB1_13:                               ;   in Loop: Header=BB1_2 Depth=1
	s_andn2_saveexec_b64 s[0:1], s[28:29]
	s_cbranch_execz .LBB1_15
; %bb.14:                               ;   in Loop: Header=BB1_2 Depth=1
	v_cvt_f32_u32_e32 v3, s14
	s_sub_i32 s13, 0, s14
	v_rcp_iflag_f32_e32 v3, v3
	v_mul_f32_e32 v3, 0x4f7ffffe, v3
	v_cvt_u32_f32_e32 v3, v3
	v_mul_lo_u32 v11, s13, v3
	v_mul_hi_u32 v11, v3, v11
	v_add_u32_e32 v3, v3, v11
	v_mul_hi_u32 v3, v10, v3
	v_mul_lo_u32 v11, v3, s14
	v_add_u32_e32 v12, 1, v3
	v_sub_u32_e32 v11, v10, v11
	v_subrev_u32_e32 v13, s14, v11
	v_cmp_le_u32_e32 vcc, s14, v11
	v_cndmask_b32_e32 v11, v11, v13, vcc
	v_cndmask_b32_e32 v3, v3, v12, vcc
	v_add_u32_e32 v12, 1, v3
	v_cmp_le_u32_e32 vcc, s14, v11
	v_cndmask_b32_e32 v12, v3, v12, vcc
.LBB1_15:                               ;   in Loop: Header=BB1_2 Depth=1
	s_or_b64 exec, exec, s[0:1]
	v_mov_b32_e32 v3, s11
	v_add_co_u32_e32 v16, vcc, s10, v7
	v_addc_co_u32_e32 v17, vcc, v3, v15, vcc
	global_load_ubyte v3, v[16:17], off
	v_mul_lo_u32 v13, v12, s14
	v_ashrrev_i32_e32 v11, 31, v12
	v_mul_lo_u32 v17, v11, s14
	v_mul_lo_u32 v15, v12, s15
	v_sub_u32_e32 v10, v10, v13
	v_ashrrev_i32_e32 v11, 31, v10
	v_mad_u64_u32 v[10:11], s[0:1], v12, s14, v[10:11]
	v_add_co_u32_e32 v0, vcc, s33, v0
	v_add3_u32 v11, v17, v11, v15
	v_mul_lo_u32 v12, s3, v10
	v_mad_u64_u32 v[4:5], s[0:1], s2, v10, v[4:5]
	v_mul_lo_u32 v10, s2, v11
	v_addc_co_u32_e32 v1, vcc, 0, v1, vcc
	v_mov_b32_e32 v16, s36
	v_cmp_le_i64_e32 vcc, s[8:9], v[0:1]
	v_add_co_u32_e64 v6, s[0:1], 0, v6
	v_addc_co_u32_e64 v7, s[0:1], v7, v16, s[0:1]
	s_andn2_b64 s[24:25], s[24:25], exec
	s_and_b64 s[0:1], vcc, exec
	v_add3_u32 v5, v12, v5, v10
	v_add_co_u32_e32 v8, vcc, v4, v8
	s_andn2_b64 s[22:23], s[22:23], exec
	v_addc_co_u32_e32 v9, vcc, v5, v9, vcc
	s_or_b64 s[24:25], s[24:25], s[0:1]
	s_waitcnt vmcnt(0)
	global_store_byte v[8:9], v3, off
.LBB1_16:                               ;   in Loop: Header=BB1_2 Depth=1
	s_or_b64 exec, exec, s[26:27]
	s_and_b64 s[0:1], exec, s[24:25]
	s_or_b64 s[4:5], s[0:1], s[4:5]
	s_andn2_b64 s[0:1], s[6:7], exec
	s_and_b64 s[6:7], s[22:23], exec
	s_or_b64 s[6:7], s[0:1], s[6:7]
	s_andn2_b64 exec, exec, s[4:5]
	s_cbranch_execnz .LBB1_2
; %bb.17:
	s_or_b64 exec, exec, s[4:5]
	s_and_saveexec_b64 s[0:1], s[6:7]
	s_xor_b64 s[0:1], exec, s[0:1]
	s_cbranch_execnz .LBB1_19
.LBB1_18:
	s_endpgm
.LBB1_19:
	s_trap 2
	; divergent unreachable
	s_endpgm
	.section	.rodata,"a",@progbits
	.p2align	6, 0x0
	.amdhsa_kernel _ZN2at6native30max_unpooling2d_forward_kernelIaEEvlPKT_PKllllllPS2_
		.amdhsa_group_segment_fixed_size 0
		.amdhsa_private_segment_fixed_size 0
		.amdhsa_kernarg_size 328
		.amdhsa_user_sgpr_count 6
		.amdhsa_user_sgpr_private_segment_buffer 1
		.amdhsa_user_sgpr_dispatch_ptr 0
		.amdhsa_user_sgpr_queue_ptr 0
		.amdhsa_user_sgpr_kernarg_segment_ptr 1
		.amdhsa_user_sgpr_dispatch_id 0
		.amdhsa_user_sgpr_flat_scratch_init 0
		.amdhsa_user_sgpr_private_segment_size 0
		.amdhsa_uses_dynamic_stack 0
		.amdhsa_system_sgpr_private_segment_wavefront_offset 0
		.amdhsa_system_sgpr_workgroup_id_x 1
		.amdhsa_system_sgpr_workgroup_id_y 0
		.amdhsa_system_sgpr_workgroup_id_z 0
		.amdhsa_system_sgpr_workgroup_info 0
		.amdhsa_system_vgpr_workitem_id 0
		.amdhsa_next_free_vgpr 22
		.amdhsa_next_free_sgpr 42
		.amdhsa_reserve_vcc 1
		.amdhsa_reserve_flat_scratch 0
		.amdhsa_float_round_mode_32 0
		.amdhsa_float_round_mode_16_64 0
		.amdhsa_float_denorm_mode_32 3
		.amdhsa_float_denorm_mode_16_64 3
		.amdhsa_dx10_clamp 1
		.amdhsa_ieee_mode 1
		.amdhsa_fp16_overflow 0
		.amdhsa_exception_fp_ieee_invalid_op 0
		.amdhsa_exception_fp_denorm_src 0
		.amdhsa_exception_fp_ieee_div_zero 0
		.amdhsa_exception_fp_ieee_overflow 0
		.amdhsa_exception_fp_ieee_underflow 0
		.amdhsa_exception_fp_ieee_inexact 0
		.amdhsa_exception_int_div_zero 0
	.end_amdhsa_kernel
	.section	.text._ZN2at6native30max_unpooling2d_forward_kernelIaEEvlPKT_PKllllllPS2_,"axG",@progbits,_ZN2at6native30max_unpooling2d_forward_kernelIaEEvlPKT_PKllllllPS2_,comdat
.Lfunc_end1:
	.size	_ZN2at6native30max_unpooling2d_forward_kernelIaEEvlPKT_PKllllllPS2_, .Lfunc_end1-_ZN2at6native30max_unpooling2d_forward_kernelIaEEvlPKT_PKllllllPS2_
                                        ; -- End function
	.set _ZN2at6native30max_unpooling2d_forward_kernelIaEEvlPKT_PKllllllPS2_.num_vgpr, 22
	.set _ZN2at6native30max_unpooling2d_forward_kernelIaEEvlPKT_PKllllllPS2_.num_agpr, 0
	.set _ZN2at6native30max_unpooling2d_forward_kernelIaEEvlPKT_PKllllllPS2_.numbered_sgpr, 42
	.set _ZN2at6native30max_unpooling2d_forward_kernelIaEEvlPKT_PKllllllPS2_.num_named_barrier, 0
	.set _ZN2at6native30max_unpooling2d_forward_kernelIaEEvlPKT_PKllllllPS2_.private_seg_size, 0
	.set _ZN2at6native30max_unpooling2d_forward_kernelIaEEvlPKT_PKllllllPS2_.uses_vcc, 1
	.set _ZN2at6native30max_unpooling2d_forward_kernelIaEEvlPKT_PKllllllPS2_.uses_flat_scratch, 0
	.set _ZN2at6native30max_unpooling2d_forward_kernelIaEEvlPKT_PKllllllPS2_.has_dyn_sized_stack, 0
	.set _ZN2at6native30max_unpooling2d_forward_kernelIaEEvlPKT_PKllllllPS2_.has_recursion, 0
	.set _ZN2at6native30max_unpooling2d_forward_kernelIaEEvlPKT_PKllllllPS2_.has_indirect_call, 0
	.section	.AMDGPU.csdata,"",@progbits
; Kernel info:
; codeLenInByte = 2612
; TotalNumSgprs: 46
; NumVgprs: 22
; ScratchSize: 0
; MemoryBound: 0
; FloatMode: 240
; IeeeMode: 1
; LDSByteSize: 0 bytes/workgroup (compile time only)
; SGPRBlocks: 5
; VGPRBlocks: 5
; NumSGPRsForWavesPerEU: 46
; NumVGPRsForWavesPerEU: 22
; Occupancy: 10
; WaveLimiterHint : 1
; COMPUTE_PGM_RSRC2:SCRATCH_EN: 0
; COMPUTE_PGM_RSRC2:USER_SGPR: 6
; COMPUTE_PGM_RSRC2:TRAP_HANDLER: 0
; COMPUTE_PGM_RSRC2:TGID_X_EN: 1
; COMPUTE_PGM_RSRC2:TGID_Y_EN: 0
; COMPUTE_PGM_RSRC2:TGID_Z_EN: 0
; COMPUTE_PGM_RSRC2:TIDIG_COMP_CNT: 0
	.section	.text._ZN2at6native30max_unpooling2d_forward_kernelIiEEvlPKT_PKllllllPS2_,"axG",@progbits,_ZN2at6native30max_unpooling2d_forward_kernelIiEEvlPKT_PKllllllPS2_,comdat
	.protected	_ZN2at6native30max_unpooling2d_forward_kernelIiEEvlPKT_PKllllllPS2_ ; -- Begin function _ZN2at6native30max_unpooling2d_forward_kernelIiEEvlPKT_PKllllllPS2_
	.globl	_ZN2at6native30max_unpooling2d_forward_kernelIiEEvlPKT_PKllllllPS2_
	.p2align	8
	.type	_ZN2at6native30max_unpooling2d_forward_kernelIiEEvlPKT_PKllllllPS2_,@function
_ZN2at6native30max_unpooling2d_forward_kernelIiEEvlPKT_PKllllllPS2_: ; @_ZN2at6native30max_unpooling2d_forward_kernelIiEEvlPKT_PKllllllPS2_
; %bb.0:
	s_load_dword s2, s[4:5], 0x54
	s_load_dwordx16 s[8:23], s[4:5], 0x0
	s_add_u32 s0, s4, 0x48
	v_mov_b32_e32 v2, 0
	s_addc_u32 s1, s5, 0
	s_waitcnt lgkmcnt(0)
	s_and_b32 s7, s2, 0xffff
	v_mov_b32_e32 v1, v2
	v_mov_b32_e32 v3, s6
	v_mad_u64_u32 v[0:1], s[2:3], s7, v3, v[0:1]
	v_cmp_gt_i64_e32 vcc, s[8:9], v[0:1]
	s_and_saveexec_b64 s[2:3], vcc
	s_cbranch_execz .LBB2_18
; %bb.1:
	s_load_dwordx2 s[24:25], s[4:5], 0x40
	s_mul_i32 s2, s22, s21
	s_load_dword s0, s[0:1], 0x0
	s_mul_hi_u32 s3, s22, s20
	v_mov_b32_e32 v3, v0
	s_add_i32 s1, s3, s2
	s_mul_i32 s2, s23, s20
	s_waitcnt lgkmcnt(0)
	s_mul_i32 s33, s0, s7
	v_mov_b32_e32 v4, s24
	v_mov_b32_e32 v7, v3
	s_add_i32 s3, s1, s2
	s_mul_i32 s2, s22, s20
	s_mov_b32 s36, s33
	s_mov_b64 s[4:5], 0
	v_mov_b32_e32 v5, s25
	v_mov_b32_e32 v16, s13
	s_ashr_i32 s20, s19, 31
	v_mov_b32_e32 v6, v2
                                        ; implicit-def: $sgpr6_sgpr7
                                        ; implicit-def: $sgpr24_sgpr25
                                        ; implicit-def: $sgpr22_sgpr23
.LBB2_2:                                ; =>This Inner Loop Header: Depth=1
	v_ashrrev_i64 v[8:9], 29, v[6:7]
	s_or_b64 s[22:23], s[22:23], exec
	v_add_co_u32_e32 v8, vcc, s12, v8
	v_addc_co_u32_e32 v9, vcc, v16, v9, vcc
	global_load_dwordx2 v[8:9], v[8:9], off
	s_or_b64 s[24:25], s[24:25], exec
	s_waitcnt vmcnt(0)
	v_ashrrev_i32_e32 v9, 31, v8
	v_cmp_gt_i64_e32 vcc, s[2:3], v[8:9]
	v_cmp_lt_i32_e64 s[0:1], -1, v8
	s_and_b64 s[0:1], s[0:1], vcc
	s_and_saveexec_b64 s[26:27], s[0:1]
	s_cbranch_execz .LBB2_16
; %bb.3:                                ;   in Loop: Header=BB2_2 Depth=1
	v_ashrrev_i32_e32 v11, 31, v7
	v_or_b32_e32 v3, s19, v11
	v_cmp_ne_u64_e32 vcc, 0, v[2:3]
	v_mov_b32_e32 v10, v7
                                        ; implicit-def: $vgpr14_vgpr15
	s_and_saveexec_b64 s[0:1], vcc
	s_xor_b64 s[28:29], exec, s[0:1]
	s_cbranch_execz .LBB2_5
; %bb.4:                                ;   in Loop: Header=BB2_2 Depth=1
	s_add_u32 s0, s18, s20
	s_mov_b32 s21, s20
	s_addc_u32 s1, s19, s20
	s_xor_b64 s[30:31], s[0:1], s[20:21]
	v_cvt_f32_u32_e32 v3, s30
	v_cvt_f32_u32_e32 v12, s31
	s_sub_u32 s13, 0, s30
	s_subb_u32 s21, 0, s31
	v_mac_f32_e32 v3, 0x4f800000, v12
	v_rcp_f32_e32 v3, v3
	v_mul_f32_e32 v3, 0x5f7ffffc, v3
	v_mul_f32_e32 v12, 0x2f800000, v3
	v_trunc_f32_e32 v12, v12
	v_mac_f32_e32 v3, 0xcf800000, v12
	v_cvt_u32_f32_e32 v12, v12
	v_cvt_u32_f32_e32 v3, v3
	v_readfirstlane_b32 s34, v12
	v_readfirstlane_b32 s0, v3
	s_mul_i32 s1, s13, s34
	s_mul_hi_u32 s37, s13, s0
	s_mul_i32 s35, s21, s0
	s_add_i32 s1, s37, s1
	s_add_i32 s1, s1, s35
	s_mul_i32 s38, s13, s0
	s_mul_i32 s37, s0, s1
	s_mul_hi_u32 s39, s0, s38
	s_mul_hi_u32 s35, s0, s1
	s_add_u32 s37, s39, s37
	s_addc_u32 s35, 0, s35
	s_mul_hi_u32 s40, s34, s38
	s_mul_i32 s38, s34, s38
	s_add_u32 s37, s37, s38
	s_mul_hi_u32 s39, s34, s1
	s_addc_u32 s35, s35, s40
	s_addc_u32 s37, s39, 0
	s_mul_i32 s1, s34, s1
	s_add_u32 s1, s35, s1
	s_addc_u32 s35, 0, s37
	s_add_u32 s37, s0, s1
	s_cselect_b64 s[0:1], -1, 0
	s_cmp_lg_u64 s[0:1], 0
	s_addc_u32 s34, s34, s35
	s_mul_i32 s0, s13, s34
	s_mul_hi_u32 s1, s13, s37
	s_add_i32 s0, s1, s0
	s_mul_i32 s21, s21, s37
	s_add_i32 s0, s0, s21
	s_mul_i32 s13, s13, s37
	s_mul_hi_u32 s21, s34, s13
	s_mul_i32 s35, s34, s13
	s_mul_i32 s39, s37, s0
	s_mul_hi_u32 s13, s37, s13
	s_mul_hi_u32 s38, s37, s0
	s_add_u32 s13, s13, s39
	s_addc_u32 s38, 0, s38
	s_add_u32 s13, s13, s35
	s_mul_hi_u32 s1, s34, s0
	s_addc_u32 s13, s38, s21
	s_addc_u32 s1, s1, 0
	s_mul_i32 s0, s34, s0
	s_add_u32 s0, s13, s0
	s_addc_u32 s13, 0, s1
	s_add_u32 s21, s37, s0
	s_cselect_b64 s[0:1], -1, 0
	v_ashrrev_i32_e32 v3, 31, v11
	s_cmp_lg_u64 s[0:1], 0
	v_add_co_u32_e32 v12, vcc, v10, v3
	s_addc_u32 s13, s34, s13
	v_xor_b32_e32 v17, v12, v3
	v_mad_u64_u32 v[12:13], s[0:1], v17, s13, 0
	v_mul_hi_u32 v15, v17, s21
	v_addc_co_u32_e32 v14, vcc, v11, v3, vcc
	v_xor_b32_e32 v18, v14, v3
	v_add_co_u32_e32 v19, vcc, v15, v12
	v_addc_co_u32_e32 v20, vcc, 0, v13, vcc
	v_mad_u64_u32 v[12:13], s[0:1], v18, s21, 0
	v_mad_u64_u32 v[14:15], s[0:1], v18, s13, 0
	v_add_co_u32_e32 v12, vcc, v19, v12
	v_addc_co_u32_e32 v12, vcc, v20, v13, vcc
	v_addc_co_u32_e32 v13, vcc, 0, v15, vcc
	v_add_co_u32_e32 v14, vcc, v12, v14
	v_addc_co_u32_e32 v15, vcc, 0, v13, vcc
	v_mul_lo_u32 v19, s31, v14
	v_mul_lo_u32 v20, s30, v15
	v_mad_u64_u32 v[12:13], s[0:1], s30, v14, 0
	v_xor_b32_e32 v3, s20, v3
	v_add3_u32 v13, v13, v20, v19
	v_sub_u32_e32 v19, v18, v13
	v_mov_b32_e32 v20, s31
	v_sub_co_u32_e32 v12, vcc, v17, v12
	v_subb_co_u32_e64 v17, s[0:1], v19, v20, vcc
	v_subrev_co_u32_e64 v19, s[0:1], s30, v12
	v_subbrev_co_u32_e64 v17, s[0:1], 0, v17, s[0:1]
	v_cmp_le_u32_e64 s[0:1], s31, v17
	v_cndmask_b32_e64 v20, 0, -1, s[0:1]
	v_cmp_le_u32_e64 s[0:1], s30, v19
	v_cndmask_b32_e64 v19, 0, -1, s[0:1]
	v_cmp_eq_u32_e64 s[0:1], s31, v17
	v_cndmask_b32_e64 v17, v20, v19, s[0:1]
	v_add_co_u32_e64 v19, s[0:1], 2, v14
	v_subb_co_u32_e32 v13, vcc, v18, v13, vcc
	v_addc_co_u32_e64 v20, s[0:1], 0, v15, s[0:1]
	v_cmp_le_u32_e32 vcc, s31, v13
	v_add_co_u32_e64 v21, s[0:1], 1, v14
	v_cndmask_b32_e64 v18, 0, -1, vcc
	v_cmp_le_u32_e32 vcc, s30, v12
	v_addc_co_u32_e64 v22, s[0:1], 0, v15, s[0:1]
	v_cndmask_b32_e64 v12, 0, -1, vcc
	v_cmp_eq_u32_e32 vcc, s31, v13
	v_cmp_ne_u32_e64 s[0:1], 0, v17
	v_cndmask_b32_e32 v12, v18, v12, vcc
	v_cmp_ne_u32_e32 vcc, 0, v12
	v_cndmask_b32_e64 v13, v21, v19, s[0:1]
	v_cndmask_b32_e64 v17, v22, v20, s[0:1]
	v_cndmask_b32_e32 v13, v14, v13, vcc
	v_cndmask_b32_e32 v12, v15, v17, vcc
	v_xor_b32_e32 v13, v13, v3
	v_xor_b32_e32 v12, v12, v3
	v_sub_co_u32_e32 v14, vcc, v13, v3
	v_subb_co_u32_e32 v15, vcc, v12, v3, vcc
.LBB2_5:                                ;   in Loop: Header=BB2_2 Depth=1
	s_andn2_saveexec_b64 s[0:1], s[28:29]
	s_cbranch_execz .LBB2_7
; %bb.6:                                ;   in Loop: Header=BB2_2 Depth=1
	v_cvt_f32_u32_e32 v3, s18
	s_sub_i32 s13, 0, s18
	v_mov_b32_e32 v15, v2
	v_rcp_iflag_f32_e32 v3, v3
	v_mul_f32_e32 v3, 0x4f7ffffe, v3
	v_cvt_u32_f32_e32 v3, v3
	v_mul_lo_u32 v12, s13, v3
	v_mul_hi_u32 v12, v3, v12
	v_add_u32_e32 v3, v3, v12
	v_mul_hi_u32 v3, v7, v3
	v_mul_lo_u32 v12, v3, s18
	v_add_u32_e32 v13, 1, v3
	v_sub_u32_e32 v12, v7, v12
	v_subrev_u32_e32 v14, s18, v12
	v_cmp_le_u32_e32 vcc, s18, v12
	v_cndmask_b32_e32 v12, v12, v14, vcc
	v_cndmask_b32_e32 v3, v3, v13, vcc
	v_add_u32_e32 v13, 1, v3
	v_cmp_le_u32_e32 vcc, s18, v12
	v_cndmask_b32_e32 v14, v3, v13, vcc
.LBB2_7:                                ;   in Loop: Header=BB2_2 Depth=1
	s_or_b64 exec, exec, s[0:1]
	v_or_b32_e32 v3, s17, v15
	v_cmp_ne_u64_e32 vcc, 0, v[2:3]
                                        ; implicit-def: $vgpr12_vgpr13
	s_and_saveexec_b64 s[0:1], vcc
	s_xor_b64 s[28:29], exec, s[0:1]
	s_cbranch_execz .LBB2_9
; %bb.8:                                ;   in Loop: Header=BB2_2 Depth=1
	s_ashr_i32 s30, s17, 31
	s_add_u32 s0, s16, s30
	s_mov_b32 s31, s30
	s_addc_u32 s1, s17, s30
	s_xor_b64 s[34:35], s[0:1], s[30:31]
	v_cvt_f32_u32_e32 v3, s34
	v_cvt_f32_u32_e32 v12, s35
	s_sub_u32 s13, 0, s34
	s_subb_u32 s21, 0, s35
	v_mac_f32_e32 v3, 0x4f800000, v12
	v_rcp_f32_e32 v3, v3
	v_mul_f32_e32 v3, 0x5f7ffffc, v3
	v_mul_f32_e32 v12, 0x2f800000, v3
	v_trunc_f32_e32 v12, v12
	v_mac_f32_e32 v3, 0xcf800000, v12
	v_cvt_u32_f32_e32 v12, v12
	v_cvt_u32_f32_e32 v3, v3
	v_readfirstlane_b32 s31, v12
	v_readfirstlane_b32 s0, v3
	s_mul_i32 s1, s13, s31
	s_mul_hi_u32 s38, s13, s0
	s_mul_i32 s37, s21, s0
	s_add_i32 s1, s38, s1
	s_add_i32 s1, s1, s37
	s_mul_i32 s39, s13, s0
	s_mul_i32 s38, s0, s1
	s_mul_hi_u32 s40, s0, s39
	s_mul_hi_u32 s37, s0, s1
	s_add_u32 s38, s40, s38
	s_addc_u32 s37, 0, s37
	s_mul_hi_u32 s41, s31, s39
	s_mul_i32 s39, s31, s39
	s_add_u32 s38, s38, s39
	s_mul_hi_u32 s40, s31, s1
	s_addc_u32 s37, s37, s41
	s_addc_u32 s38, s40, 0
	s_mul_i32 s1, s31, s1
	s_add_u32 s1, s37, s1
	s_addc_u32 s37, 0, s38
	s_add_u32 s38, s0, s1
	s_cselect_b64 s[0:1], -1, 0
	s_cmp_lg_u64 s[0:1], 0
	s_addc_u32 s31, s31, s37
	s_mul_i32 s0, s13, s31
	s_mul_hi_u32 s1, s13, s38
	s_add_i32 s0, s1, s0
	s_mul_i32 s21, s21, s38
	s_add_i32 s0, s0, s21
	s_mul_i32 s13, s13, s38
	s_mul_hi_u32 s21, s31, s13
	s_mul_i32 s37, s31, s13
	s_mul_i32 s40, s38, s0
	s_mul_hi_u32 s13, s38, s13
	s_mul_hi_u32 s39, s38, s0
	s_add_u32 s13, s13, s40
	s_addc_u32 s39, 0, s39
	s_add_u32 s13, s13, s37
	s_mul_hi_u32 s1, s31, s0
	s_addc_u32 s13, s39, s21
	s_addc_u32 s1, s1, 0
	s_mul_i32 s0, s31, s0
	s_add_u32 s0, s13, s0
	s_addc_u32 s13, 0, s1
	s_add_u32 s21, s38, s0
	s_cselect_b64 s[0:1], -1, 0
	v_ashrrev_i32_e32 v3, 31, v15
	s_cmp_lg_u64 s[0:1], 0
	v_add_co_u32_e32 v12, vcc, v14, v3
	s_addc_u32 s13, s31, s13
	v_xor_b32_e32 v17, v12, v3
	v_addc_co_u32_e32 v14, vcc, v15, v3, vcc
	v_mad_u64_u32 v[12:13], s[0:1], v17, s13, 0
	v_mul_hi_u32 v15, v17, s21
	v_xor_b32_e32 v18, v14, v3
	v_xor_b32_e32 v3, s30, v3
	v_add_co_u32_e32 v19, vcc, v15, v12
	v_addc_co_u32_e32 v20, vcc, 0, v13, vcc
	v_mad_u64_u32 v[12:13], s[0:1], v18, s21, 0
	v_mad_u64_u32 v[14:15], s[0:1], v18, s13, 0
	v_add_co_u32_e32 v12, vcc, v19, v12
	v_addc_co_u32_e32 v12, vcc, v20, v13, vcc
	v_addc_co_u32_e32 v13, vcc, 0, v15, vcc
	v_add_co_u32_e32 v14, vcc, v12, v14
	v_addc_co_u32_e32 v15, vcc, 0, v13, vcc
	v_mul_lo_u32 v19, s35, v14
	v_mul_lo_u32 v20, s34, v15
	v_mad_u64_u32 v[12:13], s[0:1], s34, v14, 0
	v_add3_u32 v13, v13, v20, v19
	v_sub_u32_e32 v19, v18, v13
	v_mov_b32_e32 v20, s35
	v_sub_co_u32_e32 v12, vcc, v17, v12
	v_subb_co_u32_e64 v17, s[0:1], v19, v20, vcc
	v_subrev_co_u32_e64 v19, s[0:1], s34, v12
	v_subbrev_co_u32_e64 v17, s[0:1], 0, v17, s[0:1]
	v_cmp_le_u32_e64 s[0:1], s35, v17
	v_cndmask_b32_e64 v20, 0, -1, s[0:1]
	v_cmp_le_u32_e64 s[0:1], s34, v19
	v_cndmask_b32_e64 v19, 0, -1, s[0:1]
	v_cmp_eq_u32_e64 s[0:1], s35, v17
	v_cndmask_b32_e64 v17, v20, v19, s[0:1]
	v_add_co_u32_e64 v19, s[0:1], 2, v14
	v_subb_co_u32_e32 v13, vcc, v18, v13, vcc
	v_addc_co_u32_e64 v20, s[0:1], 0, v15, s[0:1]
	v_cmp_le_u32_e32 vcc, s35, v13
	v_add_co_u32_e64 v21, s[0:1], 1, v14
	v_cndmask_b32_e64 v18, 0, -1, vcc
	v_cmp_le_u32_e32 vcc, s34, v12
	v_addc_co_u32_e64 v22, s[0:1], 0, v15, s[0:1]
	v_cndmask_b32_e64 v12, 0, -1, vcc
	v_cmp_eq_u32_e32 vcc, s35, v13
	v_cmp_ne_u32_e64 s[0:1], 0, v17
	v_cndmask_b32_e32 v12, v18, v12, vcc
	v_cndmask_b32_e64 v17, v22, v20, s[0:1]
	v_cmp_ne_u32_e32 vcc, 0, v12
	v_cndmask_b32_e64 v13, v21, v19, s[0:1]
	v_cndmask_b32_e32 v12, v15, v17, vcc
	v_cndmask_b32_e32 v13, v14, v13, vcc
	v_xor_b32_e32 v14, v12, v3
	v_xor_b32_e32 v12, v13, v3
	v_sub_co_u32_e32 v12, vcc, v12, v3
	v_subb_co_u32_e32 v13, vcc, v14, v3, vcc
                                        ; implicit-def: $vgpr14_vgpr15
.LBB2_9:                                ;   in Loop: Header=BB2_2 Depth=1
	s_andn2_saveexec_b64 s[0:1], s[28:29]
	s_cbranch_execz .LBB2_11
; %bb.10:                               ;   in Loop: Header=BB2_2 Depth=1
	v_cvt_f32_u32_e32 v3, s16
	s_sub_i32 s13, 0, s16
	v_rcp_iflag_f32_e32 v3, v3
	v_mul_f32_e32 v3, 0x4f7ffffe, v3
	v_cvt_u32_f32_e32 v3, v3
	v_mul_lo_u32 v12, s13, v3
	v_mul_hi_u32 v12, v3, v12
	v_add_u32_e32 v3, v3, v12
	v_mul_hi_u32 v3, v14, v3
	v_mul_lo_u32 v12, v3, s16
	v_add_u32_e32 v13, 1, v3
	v_sub_u32_e32 v12, v14, v12
	v_subrev_u32_e32 v14, s16, v12
	v_cmp_le_u32_e32 vcc, s16, v12
	v_cndmask_b32_e32 v12, v12, v14, vcc
	v_cndmask_b32_e32 v3, v3, v13, vcc
	v_add_u32_e32 v13, 1, v3
	v_cmp_le_u32_e32 vcc, s16, v12
	v_cndmask_b32_e32 v12, v3, v13, vcc
	v_mov_b32_e32 v13, v2
.LBB2_11:                               ;   in Loop: Header=BB2_2 Depth=1
	s_or_b64 exec, exec, s[0:1]
	v_or_b32_e32 v3, s15, v13
	v_cmp_ne_u64_e32 vcc, 0, v[2:3]
                                        ; implicit-def: $vgpr14_vgpr15
	s_and_saveexec_b64 s[0:1], vcc
	s_xor_b64 s[28:29], exec, s[0:1]
	s_cbranch_execz .LBB2_13
; %bb.12:                               ;   in Loop: Header=BB2_2 Depth=1
	s_ashr_i32 s30, s15, 31
	s_add_u32 s0, s14, s30
	s_mov_b32 s31, s30
	s_addc_u32 s1, s15, s30
	s_xor_b64 s[34:35], s[0:1], s[30:31]
	v_cvt_f32_u32_e32 v3, s34
	v_cvt_f32_u32_e32 v14, s35
	s_sub_u32 s13, 0, s34
	s_subb_u32 s21, 0, s35
	v_mac_f32_e32 v3, 0x4f800000, v14
	v_rcp_f32_e32 v3, v3
	v_mul_f32_e32 v3, 0x5f7ffffc, v3
	v_mul_f32_e32 v14, 0x2f800000, v3
	v_trunc_f32_e32 v14, v14
	v_mac_f32_e32 v3, 0xcf800000, v14
	v_cvt_u32_f32_e32 v14, v14
	v_cvt_u32_f32_e32 v3, v3
	v_readfirstlane_b32 s31, v14
	v_readfirstlane_b32 s0, v3
	s_mul_i32 s1, s13, s31
	s_mul_hi_u32 s38, s13, s0
	s_mul_i32 s37, s21, s0
	s_add_i32 s1, s38, s1
	s_add_i32 s1, s1, s37
	s_mul_i32 s39, s13, s0
	s_mul_i32 s38, s0, s1
	s_mul_hi_u32 s40, s0, s39
	s_mul_hi_u32 s37, s0, s1
	s_add_u32 s38, s40, s38
	s_addc_u32 s37, 0, s37
	s_mul_hi_u32 s41, s31, s39
	s_mul_i32 s39, s31, s39
	s_add_u32 s38, s38, s39
	s_mul_hi_u32 s40, s31, s1
	s_addc_u32 s37, s37, s41
	s_addc_u32 s38, s40, 0
	s_mul_i32 s1, s31, s1
	s_add_u32 s1, s37, s1
	s_addc_u32 s37, 0, s38
	s_add_u32 s38, s0, s1
	s_cselect_b64 s[0:1], -1, 0
	s_cmp_lg_u64 s[0:1], 0
	s_addc_u32 s31, s31, s37
	s_mul_i32 s0, s13, s31
	s_mul_hi_u32 s1, s13, s38
	s_add_i32 s0, s1, s0
	s_mul_i32 s21, s21, s38
	s_add_i32 s0, s0, s21
	s_mul_i32 s13, s13, s38
	s_mul_hi_u32 s21, s31, s13
	s_mul_i32 s37, s31, s13
	s_mul_i32 s40, s38, s0
	s_mul_hi_u32 s13, s38, s13
	s_mul_hi_u32 s39, s38, s0
	s_add_u32 s13, s13, s40
	s_addc_u32 s39, 0, s39
	s_add_u32 s13, s13, s37
	s_mul_hi_u32 s1, s31, s0
	s_addc_u32 s13, s39, s21
	s_addc_u32 s1, s1, 0
	s_mul_i32 s0, s31, s0
	s_add_u32 s0, s13, s0
	s_addc_u32 s13, 0, s1
	s_add_u32 s21, s38, s0
	s_cselect_b64 s[0:1], -1, 0
	v_ashrrev_i32_e32 v3, 31, v13
	s_cmp_lg_u64 s[0:1], 0
	v_add_co_u32_e32 v14, vcc, v12, v3
	s_addc_u32 s13, s31, s13
	v_xor_b32_e32 v19, v14, v3
	v_addc_co_u32_e32 v15, vcc, v13, v3, vcc
	v_mad_u64_u32 v[13:14], s[0:1], v19, s13, 0
	v_mul_hi_u32 v17, v19, s21
	v_xor_b32_e32 v15, v15, v3
	v_xor_b32_e32 v3, s30, v3
	v_add_co_u32_e32 v20, vcc, v17, v13
	v_addc_co_u32_e32 v21, vcc, 0, v14, vcc
	v_mad_u64_u32 v[13:14], s[0:1], v15, s21, 0
	v_mad_u64_u32 v[17:18], s[0:1], v15, s13, 0
	v_add_co_u32_e32 v13, vcc, v20, v13
	v_addc_co_u32_e32 v13, vcc, v21, v14, vcc
	v_addc_co_u32_e32 v14, vcc, 0, v18, vcc
	v_add_co_u32_e32 v17, vcc, v13, v17
	v_addc_co_u32_e32 v13, vcc, 0, v14, vcc
	v_mul_lo_u32 v18, s35, v17
	v_mul_lo_u32 v20, s34, v13
	v_mad_u64_u32 v[13:14], s[0:1], s34, v17, 0
	v_add3_u32 v14, v14, v20, v18
	v_sub_u32_e32 v18, v15, v14
	v_mov_b32_e32 v20, s35
	v_sub_co_u32_e32 v13, vcc, v19, v13
	v_subb_co_u32_e64 v18, s[0:1], v18, v20, vcc
	v_subrev_co_u32_e64 v19, s[0:1], s34, v13
	v_subbrev_co_u32_e64 v18, s[0:1], 0, v18, s[0:1]
	v_cmp_le_u32_e64 s[0:1], s35, v18
	v_subb_co_u32_e32 v14, vcc, v15, v14, vcc
	v_cndmask_b32_e64 v20, 0, -1, s[0:1]
	v_cmp_le_u32_e64 s[0:1], s34, v19
	v_cmp_le_u32_e32 vcc, s35, v14
	v_cndmask_b32_e64 v19, 0, -1, s[0:1]
	v_cmp_eq_u32_e64 s[0:1], s35, v18
	v_cndmask_b32_e64 v15, 0, -1, vcc
	v_cmp_le_u32_e32 vcc, s34, v13
	v_cndmask_b32_e64 v18, v20, v19, s[0:1]
	v_cndmask_b32_e64 v13, 0, -1, vcc
	v_cmp_eq_u32_e32 vcc, s35, v14
	v_add_co_u32_e64 v19, s[0:1], 2, v17
	v_add_co_u32_e64 v20, s[0:1], 1, v17
	v_cndmask_b32_e32 v13, v15, v13, vcc
	v_cmp_ne_u32_e32 vcc, 0, v18
	v_cndmask_b32_e32 v14, v20, v19, vcc
	v_cmp_ne_u32_e32 vcc, 0, v13
	v_cndmask_b32_e32 v13, v17, v14, vcc
	v_xor_b32_e32 v13, v13, v3
	v_sub_co_u32_e32 v14, vcc, v13, v3
.LBB2_13:                               ;   in Loop: Header=BB2_2 Depth=1
	s_andn2_saveexec_b64 s[0:1], s[28:29]
	s_cbranch_execz .LBB2_15
; %bb.14:                               ;   in Loop: Header=BB2_2 Depth=1
	v_cvt_f32_u32_e32 v3, s14
	s_sub_i32 s13, 0, s14
	v_rcp_iflag_f32_e32 v3, v3
	v_mul_f32_e32 v3, 0x4f7ffffe, v3
	v_cvt_u32_f32_e32 v3, v3
	v_mul_lo_u32 v13, s13, v3
	v_mul_hi_u32 v13, v3, v13
	v_add_u32_e32 v3, v3, v13
	v_mul_hi_u32 v3, v12, v3
	v_mul_lo_u32 v13, v3, s14
	v_add_u32_e32 v14, 1, v3
	v_sub_u32_e32 v13, v12, v13
	v_subrev_u32_e32 v15, s14, v13
	v_cmp_le_u32_e32 vcc, s14, v13
	v_cndmask_b32_e32 v13, v13, v15, vcc
	v_cndmask_b32_e32 v3, v3, v14, vcc
	v_add_u32_e32 v14, 1, v3
	v_cmp_le_u32_e32 vcc, s14, v13
	v_cndmask_b32_e32 v14, v3, v14, vcc
.LBB2_15:                               ;   in Loop: Header=BB2_2 Depth=1
	s_or_b64 exec, exec, s[0:1]
	v_lshlrev_b64 v[10:11], 2, v[10:11]
	v_mov_b32_e32 v3, s11
	v_add_co_u32_e32 v10, vcc, s10, v10
	v_addc_co_u32_e32 v11, vcc, v3, v11, vcc
	global_load_dword v3, v[10:11], off
	v_mul_lo_u32 v11, v14, s14
	v_ashrrev_i32_e32 v10, 31, v14
	v_mul_lo_u32 v17, v10, s14
	v_mul_lo_u32 v13, v14, s15
	v_sub_u32_e32 v10, v12, v11
	v_ashrrev_i32_e32 v11, 31, v10
	v_mad_u64_u32 v[10:11], s[0:1], v14, s14, v[10:11]
	v_add_co_u32_e32 v0, vcc, s33, v0
	v_add3_u32 v12, v17, v11, v13
	v_mul_lo_u32 v13, s3, v10
	v_mad_u64_u32 v[10:11], s[0:1], s2, v10, 0
	v_mul_lo_u32 v12, s2, v12
	v_addc_co_u32_e32 v1, vcc, 0, v1, vcc
	v_mov_b32_e32 v15, s36
	v_add3_u32 v11, v11, v12, v13
	v_cmp_le_i64_e32 vcc, s[8:9], v[0:1]
	v_add_co_u32_e64 v6, s[0:1], 0, v6
	v_lshlrev_b64 v[10:11], 2, v[10:11]
	v_addc_co_u32_e64 v7, s[0:1], v7, v15, s[0:1]
	v_lshlrev_b64 v[8:9], 2, v[8:9]
	s_and_b64 s[0:1], vcc, exec
	v_add_co_u32_e32 v4, vcc, v4, v10
	v_addc_co_u32_e32 v5, vcc, v5, v11, vcc
	s_andn2_b64 s[24:25], s[24:25], exec
	v_add_co_u32_e32 v8, vcc, v4, v8
	s_andn2_b64 s[22:23], s[22:23], exec
	v_addc_co_u32_e32 v9, vcc, v5, v9, vcc
	s_or_b64 s[24:25], s[24:25], s[0:1]
	s_waitcnt vmcnt(0)
	global_store_dword v[8:9], v3, off
.LBB2_16:                               ;   in Loop: Header=BB2_2 Depth=1
	s_or_b64 exec, exec, s[26:27]
	s_and_b64 s[0:1], exec, s[24:25]
	s_or_b64 s[4:5], s[0:1], s[4:5]
	s_andn2_b64 s[0:1], s[6:7], exec
	s_and_b64 s[6:7], s[22:23], exec
	s_or_b64 s[6:7], s[0:1], s[6:7]
	s_andn2_b64 exec, exec, s[4:5]
	s_cbranch_execnz .LBB2_2
; %bb.17:
	s_or_b64 exec, exec, s[4:5]
	s_and_saveexec_b64 s[0:1], s[6:7]
	s_xor_b64 s[0:1], exec, s[0:1]
	s_cbranch_execnz .LBB2_19
.LBB2_18:
	s_endpgm
.LBB2_19:
	s_trap 2
	; divergent unreachable
	s_endpgm
	.section	.rodata,"a",@progbits
	.p2align	6, 0x0
	.amdhsa_kernel _ZN2at6native30max_unpooling2d_forward_kernelIiEEvlPKT_PKllllllPS2_
		.amdhsa_group_segment_fixed_size 0
		.amdhsa_private_segment_fixed_size 0
		.amdhsa_kernarg_size 328
		.amdhsa_user_sgpr_count 6
		.amdhsa_user_sgpr_private_segment_buffer 1
		.amdhsa_user_sgpr_dispatch_ptr 0
		.amdhsa_user_sgpr_queue_ptr 0
		.amdhsa_user_sgpr_kernarg_segment_ptr 1
		.amdhsa_user_sgpr_dispatch_id 0
		.amdhsa_user_sgpr_flat_scratch_init 0
		.amdhsa_user_sgpr_private_segment_size 0
		.amdhsa_uses_dynamic_stack 0
		.amdhsa_system_sgpr_private_segment_wavefront_offset 0
		.amdhsa_system_sgpr_workgroup_id_x 1
		.amdhsa_system_sgpr_workgroup_id_y 0
		.amdhsa_system_sgpr_workgroup_id_z 0
		.amdhsa_system_sgpr_workgroup_info 0
		.amdhsa_system_vgpr_workitem_id 0
		.amdhsa_next_free_vgpr 23
		.amdhsa_next_free_sgpr 42
		.amdhsa_reserve_vcc 1
		.amdhsa_reserve_flat_scratch 0
		.amdhsa_float_round_mode_32 0
		.amdhsa_float_round_mode_16_64 0
		.amdhsa_float_denorm_mode_32 3
		.amdhsa_float_denorm_mode_16_64 3
		.amdhsa_dx10_clamp 1
		.amdhsa_ieee_mode 1
		.amdhsa_fp16_overflow 0
		.amdhsa_exception_fp_ieee_invalid_op 0
		.amdhsa_exception_fp_denorm_src 0
		.amdhsa_exception_fp_ieee_div_zero 0
		.amdhsa_exception_fp_ieee_overflow 0
		.amdhsa_exception_fp_ieee_underflow 0
		.amdhsa_exception_fp_ieee_inexact 0
		.amdhsa_exception_int_div_zero 0
	.end_amdhsa_kernel
	.section	.text._ZN2at6native30max_unpooling2d_forward_kernelIiEEvlPKT_PKllllllPS2_,"axG",@progbits,_ZN2at6native30max_unpooling2d_forward_kernelIiEEvlPKT_PKllllllPS2_,comdat
.Lfunc_end2:
	.size	_ZN2at6native30max_unpooling2d_forward_kernelIiEEvlPKT_PKllllllPS2_, .Lfunc_end2-_ZN2at6native30max_unpooling2d_forward_kernelIiEEvlPKT_PKllllllPS2_
                                        ; -- End function
	.set _ZN2at6native30max_unpooling2d_forward_kernelIiEEvlPKT_PKllllllPS2_.num_vgpr, 23
	.set _ZN2at6native30max_unpooling2d_forward_kernelIiEEvlPKT_PKllllllPS2_.num_agpr, 0
	.set _ZN2at6native30max_unpooling2d_forward_kernelIiEEvlPKT_PKllllllPS2_.numbered_sgpr, 42
	.set _ZN2at6native30max_unpooling2d_forward_kernelIiEEvlPKT_PKllllllPS2_.num_named_barrier, 0
	.set _ZN2at6native30max_unpooling2d_forward_kernelIiEEvlPKT_PKllllllPS2_.private_seg_size, 0
	.set _ZN2at6native30max_unpooling2d_forward_kernelIiEEvlPKT_PKllllllPS2_.uses_vcc, 1
	.set _ZN2at6native30max_unpooling2d_forward_kernelIiEEvlPKT_PKllllllPS2_.uses_flat_scratch, 0
	.set _ZN2at6native30max_unpooling2d_forward_kernelIiEEvlPKT_PKllllllPS2_.has_dyn_sized_stack, 0
	.set _ZN2at6native30max_unpooling2d_forward_kernelIiEEvlPKT_PKllllllPS2_.has_recursion, 0
	.set _ZN2at6native30max_unpooling2d_forward_kernelIiEEvlPKT_PKllllllPS2_.has_indirect_call, 0
	.section	.AMDGPU.csdata,"",@progbits
; Kernel info:
; codeLenInByte = 2648
; TotalNumSgprs: 46
; NumVgprs: 23
; ScratchSize: 0
; MemoryBound: 0
; FloatMode: 240
; IeeeMode: 1
; LDSByteSize: 0 bytes/workgroup (compile time only)
; SGPRBlocks: 5
; VGPRBlocks: 5
; NumSGPRsForWavesPerEU: 46
; NumVGPRsForWavesPerEU: 23
; Occupancy: 10
; WaveLimiterHint : 1
; COMPUTE_PGM_RSRC2:SCRATCH_EN: 0
; COMPUTE_PGM_RSRC2:USER_SGPR: 6
; COMPUTE_PGM_RSRC2:TRAP_HANDLER: 0
; COMPUTE_PGM_RSRC2:TGID_X_EN: 1
; COMPUTE_PGM_RSRC2:TGID_Y_EN: 0
; COMPUTE_PGM_RSRC2:TGID_Z_EN: 0
; COMPUTE_PGM_RSRC2:TIDIG_COMP_CNT: 0
	.section	.text._ZN2at6native30max_unpooling2d_forward_kernelIlEEvlPKT_PKllllllPS2_,"axG",@progbits,_ZN2at6native30max_unpooling2d_forward_kernelIlEEvlPKT_PKllllllPS2_,comdat
	.protected	_ZN2at6native30max_unpooling2d_forward_kernelIlEEvlPKT_PKllllllPS2_ ; -- Begin function _ZN2at6native30max_unpooling2d_forward_kernelIlEEvlPKT_PKllllllPS2_
	.globl	_ZN2at6native30max_unpooling2d_forward_kernelIlEEvlPKT_PKllllllPS2_
	.p2align	8
	.type	_ZN2at6native30max_unpooling2d_forward_kernelIlEEvlPKT_PKllllllPS2_,@function
_ZN2at6native30max_unpooling2d_forward_kernelIlEEvlPKT_PKllllllPS2_: ; @_ZN2at6native30max_unpooling2d_forward_kernelIlEEvlPKT_PKllllllPS2_
; %bb.0:
	s_load_dword s2, s[4:5], 0x54
	s_load_dwordx16 s[8:23], s[4:5], 0x0
	s_add_u32 s0, s4, 0x48
	v_mov_b32_e32 v2, 0
	s_addc_u32 s1, s5, 0
	s_waitcnt lgkmcnt(0)
	s_and_b32 s7, s2, 0xffff
	v_mov_b32_e32 v1, v2
	v_mov_b32_e32 v3, s6
	v_mad_u64_u32 v[0:1], s[2:3], s7, v3, v[0:1]
	v_cmp_gt_i64_e32 vcc, s[8:9], v[0:1]
	s_and_saveexec_b64 s[2:3], vcc
	s_cbranch_execz .LBB3_18
; %bb.1:
	s_load_dwordx2 s[24:25], s[4:5], 0x40
	s_mul_i32 s2, s22, s21
	s_load_dword s0, s[0:1], 0x0
	s_mul_hi_u32 s3, s22, s20
	v_mov_b32_e32 v3, v0
	s_add_i32 s1, s3, s2
	s_mul_i32 s2, s23, s20
	s_waitcnt lgkmcnt(0)
	s_mul_i32 s33, s0, s7
	v_mov_b32_e32 v4, s24
	v_mov_b32_e32 v7, v3
	s_add_i32 s3, s1, s2
	s_mul_i32 s2, s22, s20
	s_mov_b32 s36, s33
	s_mov_b64 s[4:5], 0
	v_mov_b32_e32 v5, s25
	v_mov_b32_e32 v16, s13
	s_ashr_i32 s20, s19, 31
	v_mov_b32_e32 v6, v2
                                        ; implicit-def: $sgpr6_sgpr7
                                        ; implicit-def: $sgpr24_sgpr25
                                        ; implicit-def: $sgpr22_sgpr23
.LBB3_2:                                ; =>This Inner Loop Header: Depth=1
	v_ashrrev_i64 v[8:9], 29, v[6:7]
	s_or_b64 s[22:23], s[22:23], exec
	v_add_co_u32_e32 v8, vcc, s12, v8
	v_addc_co_u32_e32 v9, vcc, v16, v9, vcc
	global_load_dwordx2 v[8:9], v[8:9], off
	s_or_b64 s[24:25], s[24:25], exec
	s_waitcnt vmcnt(0)
	v_ashrrev_i32_e32 v9, 31, v8
	v_cmp_gt_i64_e32 vcc, s[2:3], v[8:9]
	v_cmp_lt_i32_e64 s[0:1], -1, v8
	s_and_b64 s[0:1], s[0:1], vcc
	s_and_saveexec_b64 s[26:27], s[0:1]
	s_cbranch_execz .LBB3_16
; %bb.3:                                ;   in Loop: Header=BB3_2 Depth=1
	v_ashrrev_i32_e32 v11, 31, v7
	v_or_b32_e32 v3, s19, v11
	v_cmp_ne_u64_e32 vcc, 0, v[2:3]
	v_mov_b32_e32 v10, v7
                                        ; implicit-def: $vgpr14_vgpr15
	s_and_saveexec_b64 s[0:1], vcc
	s_xor_b64 s[28:29], exec, s[0:1]
	s_cbranch_execz .LBB3_5
; %bb.4:                                ;   in Loop: Header=BB3_2 Depth=1
	s_add_u32 s0, s18, s20
	s_mov_b32 s21, s20
	s_addc_u32 s1, s19, s20
	s_xor_b64 s[30:31], s[0:1], s[20:21]
	v_cvt_f32_u32_e32 v3, s30
	v_cvt_f32_u32_e32 v12, s31
	s_sub_u32 s13, 0, s30
	s_subb_u32 s21, 0, s31
	v_mac_f32_e32 v3, 0x4f800000, v12
	v_rcp_f32_e32 v3, v3
	v_mul_f32_e32 v3, 0x5f7ffffc, v3
	v_mul_f32_e32 v12, 0x2f800000, v3
	v_trunc_f32_e32 v12, v12
	v_mac_f32_e32 v3, 0xcf800000, v12
	v_cvt_u32_f32_e32 v12, v12
	v_cvt_u32_f32_e32 v3, v3
	v_readfirstlane_b32 s34, v12
	v_readfirstlane_b32 s0, v3
	s_mul_i32 s1, s13, s34
	s_mul_hi_u32 s37, s13, s0
	s_mul_i32 s35, s21, s0
	s_add_i32 s1, s37, s1
	s_add_i32 s1, s1, s35
	s_mul_i32 s38, s13, s0
	s_mul_i32 s37, s0, s1
	s_mul_hi_u32 s39, s0, s38
	s_mul_hi_u32 s35, s0, s1
	s_add_u32 s37, s39, s37
	s_addc_u32 s35, 0, s35
	s_mul_hi_u32 s40, s34, s38
	s_mul_i32 s38, s34, s38
	s_add_u32 s37, s37, s38
	s_mul_hi_u32 s39, s34, s1
	s_addc_u32 s35, s35, s40
	s_addc_u32 s37, s39, 0
	s_mul_i32 s1, s34, s1
	s_add_u32 s1, s35, s1
	s_addc_u32 s35, 0, s37
	s_add_u32 s37, s0, s1
	s_cselect_b64 s[0:1], -1, 0
	s_cmp_lg_u64 s[0:1], 0
	s_addc_u32 s34, s34, s35
	s_mul_i32 s0, s13, s34
	s_mul_hi_u32 s1, s13, s37
	s_add_i32 s0, s1, s0
	s_mul_i32 s21, s21, s37
	s_add_i32 s0, s0, s21
	s_mul_i32 s13, s13, s37
	s_mul_hi_u32 s21, s34, s13
	s_mul_i32 s35, s34, s13
	s_mul_i32 s39, s37, s0
	s_mul_hi_u32 s13, s37, s13
	s_mul_hi_u32 s38, s37, s0
	s_add_u32 s13, s13, s39
	s_addc_u32 s38, 0, s38
	s_add_u32 s13, s13, s35
	s_mul_hi_u32 s1, s34, s0
	s_addc_u32 s13, s38, s21
	s_addc_u32 s1, s1, 0
	s_mul_i32 s0, s34, s0
	s_add_u32 s0, s13, s0
	s_addc_u32 s13, 0, s1
	s_add_u32 s21, s37, s0
	s_cselect_b64 s[0:1], -1, 0
	v_ashrrev_i32_e32 v3, 31, v11
	s_cmp_lg_u64 s[0:1], 0
	v_add_co_u32_e32 v12, vcc, v10, v3
	s_addc_u32 s13, s34, s13
	v_xor_b32_e32 v17, v12, v3
	v_mad_u64_u32 v[12:13], s[0:1], v17, s13, 0
	v_mul_hi_u32 v15, v17, s21
	v_addc_co_u32_e32 v14, vcc, v11, v3, vcc
	v_xor_b32_e32 v18, v14, v3
	v_add_co_u32_e32 v19, vcc, v15, v12
	v_addc_co_u32_e32 v20, vcc, 0, v13, vcc
	v_mad_u64_u32 v[12:13], s[0:1], v18, s21, 0
	v_mad_u64_u32 v[14:15], s[0:1], v18, s13, 0
	v_add_co_u32_e32 v12, vcc, v19, v12
	v_addc_co_u32_e32 v12, vcc, v20, v13, vcc
	v_addc_co_u32_e32 v13, vcc, 0, v15, vcc
	v_add_co_u32_e32 v14, vcc, v12, v14
	v_addc_co_u32_e32 v15, vcc, 0, v13, vcc
	v_mul_lo_u32 v19, s31, v14
	v_mul_lo_u32 v20, s30, v15
	v_mad_u64_u32 v[12:13], s[0:1], s30, v14, 0
	v_xor_b32_e32 v3, s20, v3
	v_add3_u32 v13, v13, v20, v19
	v_sub_u32_e32 v19, v18, v13
	v_mov_b32_e32 v20, s31
	v_sub_co_u32_e32 v12, vcc, v17, v12
	v_subb_co_u32_e64 v17, s[0:1], v19, v20, vcc
	v_subrev_co_u32_e64 v19, s[0:1], s30, v12
	v_subbrev_co_u32_e64 v17, s[0:1], 0, v17, s[0:1]
	v_cmp_le_u32_e64 s[0:1], s31, v17
	v_cndmask_b32_e64 v20, 0, -1, s[0:1]
	v_cmp_le_u32_e64 s[0:1], s30, v19
	v_cndmask_b32_e64 v19, 0, -1, s[0:1]
	v_cmp_eq_u32_e64 s[0:1], s31, v17
	v_cndmask_b32_e64 v17, v20, v19, s[0:1]
	v_add_co_u32_e64 v19, s[0:1], 2, v14
	v_subb_co_u32_e32 v13, vcc, v18, v13, vcc
	v_addc_co_u32_e64 v20, s[0:1], 0, v15, s[0:1]
	v_cmp_le_u32_e32 vcc, s31, v13
	v_add_co_u32_e64 v21, s[0:1], 1, v14
	v_cndmask_b32_e64 v18, 0, -1, vcc
	v_cmp_le_u32_e32 vcc, s30, v12
	v_addc_co_u32_e64 v22, s[0:1], 0, v15, s[0:1]
	v_cndmask_b32_e64 v12, 0, -1, vcc
	v_cmp_eq_u32_e32 vcc, s31, v13
	v_cmp_ne_u32_e64 s[0:1], 0, v17
	v_cndmask_b32_e32 v12, v18, v12, vcc
	v_cmp_ne_u32_e32 vcc, 0, v12
	v_cndmask_b32_e64 v13, v21, v19, s[0:1]
	v_cndmask_b32_e64 v17, v22, v20, s[0:1]
	v_cndmask_b32_e32 v13, v14, v13, vcc
	v_cndmask_b32_e32 v12, v15, v17, vcc
	v_xor_b32_e32 v13, v13, v3
	v_xor_b32_e32 v12, v12, v3
	v_sub_co_u32_e32 v14, vcc, v13, v3
	v_subb_co_u32_e32 v15, vcc, v12, v3, vcc
.LBB3_5:                                ;   in Loop: Header=BB3_2 Depth=1
	s_andn2_saveexec_b64 s[0:1], s[28:29]
	s_cbranch_execz .LBB3_7
; %bb.6:                                ;   in Loop: Header=BB3_2 Depth=1
	v_cvt_f32_u32_e32 v3, s18
	s_sub_i32 s13, 0, s18
	v_mov_b32_e32 v15, v2
	v_rcp_iflag_f32_e32 v3, v3
	v_mul_f32_e32 v3, 0x4f7ffffe, v3
	v_cvt_u32_f32_e32 v3, v3
	v_mul_lo_u32 v12, s13, v3
	v_mul_hi_u32 v12, v3, v12
	v_add_u32_e32 v3, v3, v12
	v_mul_hi_u32 v3, v7, v3
	v_mul_lo_u32 v12, v3, s18
	v_add_u32_e32 v13, 1, v3
	v_sub_u32_e32 v12, v7, v12
	v_subrev_u32_e32 v14, s18, v12
	v_cmp_le_u32_e32 vcc, s18, v12
	v_cndmask_b32_e32 v12, v12, v14, vcc
	v_cndmask_b32_e32 v3, v3, v13, vcc
	v_add_u32_e32 v13, 1, v3
	v_cmp_le_u32_e32 vcc, s18, v12
	v_cndmask_b32_e32 v14, v3, v13, vcc
.LBB3_7:                                ;   in Loop: Header=BB3_2 Depth=1
	s_or_b64 exec, exec, s[0:1]
	v_or_b32_e32 v3, s17, v15
	v_cmp_ne_u64_e32 vcc, 0, v[2:3]
                                        ; implicit-def: $vgpr12_vgpr13
	s_and_saveexec_b64 s[0:1], vcc
	s_xor_b64 s[28:29], exec, s[0:1]
	s_cbranch_execz .LBB3_9
; %bb.8:                                ;   in Loop: Header=BB3_2 Depth=1
	s_ashr_i32 s30, s17, 31
	s_add_u32 s0, s16, s30
	s_mov_b32 s31, s30
	s_addc_u32 s1, s17, s30
	s_xor_b64 s[34:35], s[0:1], s[30:31]
	v_cvt_f32_u32_e32 v3, s34
	v_cvt_f32_u32_e32 v12, s35
	s_sub_u32 s13, 0, s34
	s_subb_u32 s21, 0, s35
	v_mac_f32_e32 v3, 0x4f800000, v12
	v_rcp_f32_e32 v3, v3
	v_mul_f32_e32 v3, 0x5f7ffffc, v3
	v_mul_f32_e32 v12, 0x2f800000, v3
	v_trunc_f32_e32 v12, v12
	v_mac_f32_e32 v3, 0xcf800000, v12
	v_cvt_u32_f32_e32 v12, v12
	v_cvt_u32_f32_e32 v3, v3
	v_readfirstlane_b32 s31, v12
	v_readfirstlane_b32 s0, v3
	s_mul_i32 s1, s13, s31
	s_mul_hi_u32 s38, s13, s0
	s_mul_i32 s37, s21, s0
	s_add_i32 s1, s38, s1
	s_add_i32 s1, s1, s37
	s_mul_i32 s39, s13, s0
	s_mul_i32 s38, s0, s1
	s_mul_hi_u32 s40, s0, s39
	s_mul_hi_u32 s37, s0, s1
	s_add_u32 s38, s40, s38
	s_addc_u32 s37, 0, s37
	s_mul_hi_u32 s41, s31, s39
	s_mul_i32 s39, s31, s39
	s_add_u32 s38, s38, s39
	s_mul_hi_u32 s40, s31, s1
	s_addc_u32 s37, s37, s41
	s_addc_u32 s38, s40, 0
	s_mul_i32 s1, s31, s1
	s_add_u32 s1, s37, s1
	s_addc_u32 s37, 0, s38
	s_add_u32 s38, s0, s1
	s_cselect_b64 s[0:1], -1, 0
	s_cmp_lg_u64 s[0:1], 0
	s_addc_u32 s31, s31, s37
	s_mul_i32 s0, s13, s31
	s_mul_hi_u32 s1, s13, s38
	s_add_i32 s0, s1, s0
	s_mul_i32 s21, s21, s38
	s_add_i32 s0, s0, s21
	s_mul_i32 s13, s13, s38
	s_mul_hi_u32 s21, s31, s13
	s_mul_i32 s37, s31, s13
	s_mul_i32 s40, s38, s0
	s_mul_hi_u32 s13, s38, s13
	s_mul_hi_u32 s39, s38, s0
	s_add_u32 s13, s13, s40
	s_addc_u32 s39, 0, s39
	s_add_u32 s13, s13, s37
	s_mul_hi_u32 s1, s31, s0
	s_addc_u32 s13, s39, s21
	s_addc_u32 s1, s1, 0
	s_mul_i32 s0, s31, s0
	s_add_u32 s0, s13, s0
	s_addc_u32 s13, 0, s1
	s_add_u32 s21, s38, s0
	s_cselect_b64 s[0:1], -1, 0
	v_ashrrev_i32_e32 v3, 31, v15
	s_cmp_lg_u64 s[0:1], 0
	v_add_co_u32_e32 v12, vcc, v14, v3
	s_addc_u32 s13, s31, s13
	v_xor_b32_e32 v17, v12, v3
	v_addc_co_u32_e32 v14, vcc, v15, v3, vcc
	v_mad_u64_u32 v[12:13], s[0:1], v17, s13, 0
	v_mul_hi_u32 v15, v17, s21
	v_xor_b32_e32 v18, v14, v3
	v_xor_b32_e32 v3, s30, v3
	v_add_co_u32_e32 v19, vcc, v15, v12
	v_addc_co_u32_e32 v20, vcc, 0, v13, vcc
	v_mad_u64_u32 v[12:13], s[0:1], v18, s21, 0
	v_mad_u64_u32 v[14:15], s[0:1], v18, s13, 0
	v_add_co_u32_e32 v12, vcc, v19, v12
	v_addc_co_u32_e32 v12, vcc, v20, v13, vcc
	v_addc_co_u32_e32 v13, vcc, 0, v15, vcc
	v_add_co_u32_e32 v14, vcc, v12, v14
	v_addc_co_u32_e32 v15, vcc, 0, v13, vcc
	v_mul_lo_u32 v19, s35, v14
	v_mul_lo_u32 v20, s34, v15
	v_mad_u64_u32 v[12:13], s[0:1], s34, v14, 0
	v_add3_u32 v13, v13, v20, v19
	v_sub_u32_e32 v19, v18, v13
	v_mov_b32_e32 v20, s35
	v_sub_co_u32_e32 v12, vcc, v17, v12
	v_subb_co_u32_e64 v17, s[0:1], v19, v20, vcc
	v_subrev_co_u32_e64 v19, s[0:1], s34, v12
	v_subbrev_co_u32_e64 v17, s[0:1], 0, v17, s[0:1]
	v_cmp_le_u32_e64 s[0:1], s35, v17
	v_cndmask_b32_e64 v20, 0, -1, s[0:1]
	v_cmp_le_u32_e64 s[0:1], s34, v19
	v_cndmask_b32_e64 v19, 0, -1, s[0:1]
	v_cmp_eq_u32_e64 s[0:1], s35, v17
	v_cndmask_b32_e64 v17, v20, v19, s[0:1]
	v_add_co_u32_e64 v19, s[0:1], 2, v14
	v_subb_co_u32_e32 v13, vcc, v18, v13, vcc
	v_addc_co_u32_e64 v20, s[0:1], 0, v15, s[0:1]
	v_cmp_le_u32_e32 vcc, s35, v13
	v_add_co_u32_e64 v21, s[0:1], 1, v14
	v_cndmask_b32_e64 v18, 0, -1, vcc
	v_cmp_le_u32_e32 vcc, s34, v12
	v_addc_co_u32_e64 v22, s[0:1], 0, v15, s[0:1]
	v_cndmask_b32_e64 v12, 0, -1, vcc
	v_cmp_eq_u32_e32 vcc, s35, v13
	v_cmp_ne_u32_e64 s[0:1], 0, v17
	v_cndmask_b32_e32 v12, v18, v12, vcc
	v_cndmask_b32_e64 v17, v22, v20, s[0:1]
	v_cmp_ne_u32_e32 vcc, 0, v12
	v_cndmask_b32_e64 v13, v21, v19, s[0:1]
	v_cndmask_b32_e32 v12, v15, v17, vcc
	v_cndmask_b32_e32 v13, v14, v13, vcc
	v_xor_b32_e32 v14, v12, v3
	v_xor_b32_e32 v12, v13, v3
	v_sub_co_u32_e32 v12, vcc, v12, v3
	v_subb_co_u32_e32 v13, vcc, v14, v3, vcc
                                        ; implicit-def: $vgpr14_vgpr15
.LBB3_9:                                ;   in Loop: Header=BB3_2 Depth=1
	s_andn2_saveexec_b64 s[0:1], s[28:29]
	s_cbranch_execz .LBB3_11
; %bb.10:                               ;   in Loop: Header=BB3_2 Depth=1
	v_cvt_f32_u32_e32 v3, s16
	s_sub_i32 s13, 0, s16
	v_rcp_iflag_f32_e32 v3, v3
	v_mul_f32_e32 v3, 0x4f7ffffe, v3
	v_cvt_u32_f32_e32 v3, v3
	v_mul_lo_u32 v12, s13, v3
	v_mul_hi_u32 v12, v3, v12
	v_add_u32_e32 v3, v3, v12
	v_mul_hi_u32 v3, v14, v3
	v_mul_lo_u32 v12, v3, s16
	v_add_u32_e32 v13, 1, v3
	v_sub_u32_e32 v12, v14, v12
	v_subrev_u32_e32 v14, s16, v12
	v_cmp_le_u32_e32 vcc, s16, v12
	v_cndmask_b32_e32 v12, v12, v14, vcc
	v_cndmask_b32_e32 v3, v3, v13, vcc
	v_add_u32_e32 v13, 1, v3
	v_cmp_le_u32_e32 vcc, s16, v12
	v_cndmask_b32_e32 v12, v3, v13, vcc
	v_mov_b32_e32 v13, v2
.LBB3_11:                               ;   in Loop: Header=BB3_2 Depth=1
	s_or_b64 exec, exec, s[0:1]
	v_or_b32_e32 v3, s15, v13
	v_cmp_ne_u64_e32 vcc, 0, v[2:3]
                                        ; implicit-def: $vgpr14_vgpr15
	s_and_saveexec_b64 s[0:1], vcc
	s_xor_b64 s[28:29], exec, s[0:1]
	s_cbranch_execz .LBB3_13
; %bb.12:                               ;   in Loop: Header=BB3_2 Depth=1
	s_ashr_i32 s30, s15, 31
	s_add_u32 s0, s14, s30
	s_mov_b32 s31, s30
	s_addc_u32 s1, s15, s30
	s_xor_b64 s[34:35], s[0:1], s[30:31]
	v_cvt_f32_u32_e32 v3, s34
	v_cvt_f32_u32_e32 v14, s35
	s_sub_u32 s13, 0, s34
	s_subb_u32 s21, 0, s35
	v_mac_f32_e32 v3, 0x4f800000, v14
	v_rcp_f32_e32 v3, v3
	v_mul_f32_e32 v3, 0x5f7ffffc, v3
	v_mul_f32_e32 v14, 0x2f800000, v3
	v_trunc_f32_e32 v14, v14
	v_mac_f32_e32 v3, 0xcf800000, v14
	v_cvt_u32_f32_e32 v14, v14
	v_cvt_u32_f32_e32 v3, v3
	v_readfirstlane_b32 s31, v14
	v_readfirstlane_b32 s0, v3
	s_mul_i32 s1, s13, s31
	s_mul_hi_u32 s38, s13, s0
	s_mul_i32 s37, s21, s0
	s_add_i32 s1, s38, s1
	s_add_i32 s1, s1, s37
	s_mul_i32 s39, s13, s0
	s_mul_i32 s38, s0, s1
	s_mul_hi_u32 s40, s0, s39
	s_mul_hi_u32 s37, s0, s1
	s_add_u32 s38, s40, s38
	s_addc_u32 s37, 0, s37
	s_mul_hi_u32 s41, s31, s39
	s_mul_i32 s39, s31, s39
	s_add_u32 s38, s38, s39
	s_mul_hi_u32 s40, s31, s1
	s_addc_u32 s37, s37, s41
	s_addc_u32 s38, s40, 0
	s_mul_i32 s1, s31, s1
	s_add_u32 s1, s37, s1
	s_addc_u32 s37, 0, s38
	s_add_u32 s38, s0, s1
	s_cselect_b64 s[0:1], -1, 0
	s_cmp_lg_u64 s[0:1], 0
	s_addc_u32 s31, s31, s37
	s_mul_i32 s0, s13, s31
	s_mul_hi_u32 s1, s13, s38
	s_add_i32 s0, s1, s0
	s_mul_i32 s21, s21, s38
	s_add_i32 s0, s0, s21
	s_mul_i32 s13, s13, s38
	s_mul_hi_u32 s21, s31, s13
	s_mul_i32 s37, s31, s13
	s_mul_i32 s40, s38, s0
	s_mul_hi_u32 s13, s38, s13
	s_mul_hi_u32 s39, s38, s0
	s_add_u32 s13, s13, s40
	s_addc_u32 s39, 0, s39
	s_add_u32 s13, s13, s37
	s_mul_hi_u32 s1, s31, s0
	s_addc_u32 s13, s39, s21
	s_addc_u32 s1, s1, 0
	s_mul_i32 s0, s31, s0
	s_add_u32 s0, s13, s0
	s_addc_u32 s13, 0, s1
	s_add_u32 s21, s38, s0
	s_cselect_b64 s[0:1], -1, 0
	v_ashrrev_i32_e32 v3, 31, v13
	s_cmp_lg_u64 s[0:1], 0
	v_add_co_u32_e32 v14, vcc, v12, v3
	s_addc_u32 s13, s31, s13
	v_xor_b32_e32 v19, v14, v3
	v_addc_co_u32_e32 v15, vcc, v13, v3, vcc
	v_mad_u64_u32 v[13:14], s[0:1], v19, s13, 0
	v_mul_hi_u32 v17, v19, s21
	v_xor_b32_e32 v15, v15, v3
	v_xor_b32_e32 v3, s30, v3
	v_add_co_u32_e32 v20, vcc, v17, v13
	v_addc_co_u32_e32 v21, vcc, 0, v14, vcc
	v_mad_u64_u32 v[13:14], s[0:1], v15, s21, 0
	v_mad_u64_u32 v[17:18], s[0:1], v15, s13, 0
	v_add_co_u32_e32 v13, vcc, v20, v13
	v_addc_co_u32_e32 v13, vcc, v21, v14, vcc
	v_addc_co_u32_e32 v14, vcc, 0, v18, vcc
	v_add_co_u32_e32 v17, vcc, v13, v17
	v_addc_co_u32_e32 v13, vcc, 0, v14, vcc
	v_mul_lo_u32 v18, s35, v17
	v_mul_lo_u32 v20, s34, v13
	v_mad_u64_u32 v[13:14], s[0:1], s34, v17, 0
	v_add3_u32 v14, v14, v20, v18
	v_sub_u32_e32 v18, v15, v14
	v_mov_b32_e32 v20, s35
	v_sub_co_u32_e32 v13, vcc, v19, v13
	v_subb_co_u32_e64 v18, s[0:1], v18, v20, vcc
	v_subrev_co_u32_e64 v19, s[0:1], s34, v13
	v_subbrev_co_u32_e64 v18, s[0:1], 0, v18, s[0:1]
	v_cmp_le_u32_e64 s[0:1], s35, v18
	v_subb_co_u32_e32 v14, vcc, v15, v14, vcc
	v_cndmask_b32_e64 v20, 0, -1, s[0:1]
	v_cmp_le_u32_e64 s[0:1], s34, v19
	v_cmp_le_u32_e32 vcc, s35, v14
	v_cndmask_b32_e64 v19, 0, -1, s[0:1]
	v_cmp_eq_u32_e64 s[0:1], s35, v18
	v_cndmask_b32_e64 v15, 0, -1, vcc
	v_cmp_le_u32_e32 vcc, s34, v13
	v_cndmask_b32_e64 v18, v20, v19, s[0:1]
	v_cndmask_b32_e64 v13, 0, -1, vcc
	v_cmp_eq_u32_e32 vcc, s35, v14
	v_add_co_u32_e64 v19, s[0:1], 2, v17
	v_add_co_u32_e64 v20, s[0:1], 1, v17
	v_cndmask_b32_e32 v13, v15, v13, vcc
	v_cmp_ne_u32_e32 vcc, 0, v18
	v_cndmask_b32_e32 v14, v20, v19, vcc
	v_cmp_ne_u32_e32 vcc, 0, v13
	v_cndmask_b32_e32 v13, v17, v14, vcc
	v_xor_b32_e32 v13, v13, v3
	v_sub_co_u32_e32 v14, vcc, v13, v3
.LBB3_13:                               ;   in Loop: Header=BB3_2 Depth=1
	s_andn2_saveexec_b64 s[0:1], s[28:29]
	s_cbranch_execz .LBB3_15
; %bb.14:                               ;   in Loop: Header=BB3_2 Depth=1
	v_cvt_f32_u32_e32 v3, s14
	s_sub_i32 s13, 0, s14
	v_rcp_iflag_f32_e32 v3, v3
	v_mul_f32_e32 v3, 0x4f7ffffe, v3
	v_cvt_u32_f32_e32 v3, v3
	v_mul_lo_u32 v13, s13, v3
	v_mul_hi_u32 v13, v3, v13
	v_add_u32_e32 v3, v3, v13
	v_mul_hi_u32 v3, v12, v3
	v_mul_lo_u32 v13, v3, s14
	v_add_u32_e32 v14, 1, v3
	v_sub_u32_e32 v13, v12, v13
	v_subrev_u32_e32 v15, s14, v13
	v_cmp_le_u32_e32 vcc, s14, v13
	v_cndmask_b32_e32 v13, v13, v15, vcc
	v_cndmask_b32_e32 v3, v3, v14, vcc
	v_add_u32_e32 v14, 1, v3
	v_cmp_le_u32_e32 vcc, s14, v13
	v_cndmask_b32_e32 v14, v3, v14, vcc
.LBB3_15:                               ;   in Loop: Header=BB3_2 Depth=1
	s_or_b64 exec, exec, s[0:1]
	v_lshlrev_b64 v[10:11], 3, v[10:11]
	v_mov_b32_e32 v3, s11
	v_add_co_u32_e32 v10, vcc, s10, v10
	v_addc_co_u32_e32 v11, vcc, v3, v11, vcc
	global_load_dwordx2 v[10:11], v[10:11], off
	v_mul_lo_u32 v13, v14, s14
	v_ashrrev_i32_e32 v3, 31, v14
	v_mul_lo_u32 v15, v14, s15
	v_mul_lo_u32 v3, v3, s14
	v_sub_u32_e32 v12, v12, v13
	v_ashrrev_i32_e32 v13, 31, v12
	v_mad_u64_u32 v[12:13], s[0:1], v14, s14, v[12:13]
	v_add_co_u32_e32 v0, vcc, s33, v0
	v_add3_u32 v3, v3, v13, v15
	v_mul_lo_u32 v14, s3, v12
	v_mad_u64_u32 v[12:13], s[0:1], s2, v12, 0
	v_mul_lo_u32 v3, s2, v3
	v_addc_co_u32_e32 v1, vcc, 0, v1, vcc
	v_mov_b32_e32 v17, s36
	v_add3_u32 v13, v13, v3, v14
	v_cmp_le_i64_e32 vcc, s[8:9], v[0:1]
	v_add_co_u32_e64 v6, s[0:1], 0, v6
	v_lshlrev_b64 v[12:13], 3, v[12:13]
	v_addc_co_u32_e64 v7, s[0:1], v7, v17, s[0:1]
	v_lshlrev_b64 v[8:9], 3, v[8:9]
	s_and_b64 s[0:1], vcc, exec
	v_add_co_u32_e32 v4, vcc, v4, v12
	v_addc_co_u32_e32 v5, vcc, v5, v13, vcc
	s_andn2_b64 s[24:25], s[24:25], exec
	v_add_co_u32_e32 v8, vcc, v4, v8
	s_andn2_b64 s[22:23], s[22:23], exec
	v_addc_co_u32_e32 v9, vcc, v5, v9, vcc
	s_or_b64 s[24:25], s[24:25], s[0:1]
	s_waitcnt vmcnt(0)
	global_store_dwordx2 v[8:9], v[10:11], off
.LBB3_16:                               ;   in Loop: Header=BB3_2 Depth=1
	s_or_b64 exec, exec, s[26:27]
	s_and_b64 s[0:1], exec, s[24:25]
	s_or_b64 s[4:5], s[0:1], s[4:5]
	s_andn2_b64 s[0:1], s[6:7], exec
	s_and_b64 s[6:7], s[22:23], exec
	s_or_b64 s[6:7], s[0:1], s[6:7]
	s_andn2_b64 exec, exec, s[4:5]
	s_cbranch_execnz .LBB3_2
; %bb.17:
	s_or_b64 exec, exec, s[4:5]
	s_and_saveexec_b64 s[0:1], s[6:7]
	s_xor_b64 s[0:1], exec, s[0:1]
	s_cbranch_execnz .LBB3_19
.LBB3_18:
	s_endpgm
.LBB3_19:
	s_trap 2
	; divergent unreachable
	s_endpgm
	.section	.rodata,"a",@progbits
	.p2align	6, 0x0
	.amdhsa_kernel _ZN2at6native30max_unpooling2d_forward_kernelIlEEvlPKT_PKllllllPS2_
		.amdhsa_group_segment_fixed_size 0
		.amdhsa_private_segment_fixed_size 0
		.amdhsa_kernarg_size 328
		.amdhsa_user_sgpr_count 6
		.amdhsa_user_sgpr_private_segment_buffer 1
		.amdhsa_user_sgpr_dispatch_ptr 0
		.amdhsa_user_sgpr_queue_ptr 0
		.amdhsa_user_sgpr_kernarg_segment_ptr 1
		.amdhsa_user_sgpr_dispatch_id 0
		.amdhsa_user_sgpr_flat_scratch_init 0
		.amdhsa_user_sgpr_private_segment_size 0
		.amdhsa_uses_dynamic_stack 0
		.amdhsa_system_sgpr_private_segment_wavefront_offset 0
		.amdhsa_system_sgpr_workgroup_id_x 1
		.amdhsa_system_sgpr_workgroup_id_y 0
		.amdhsa_system_sgpr_workgroup_id_z 0
		.amdhsa_system_sgpr_workgroup_info 0
		.amdhsa_system_vgpr_workitem_id 0
		.amdhsa_next_free_vgpr 23
		.amdhsa_next_free_sgpr 42
		.amdhsa_reserve_vcc 1
		.amdhsa_reserve_flat_scratch 0
		.amdhsa_float_round_mode_32 0
		.amdhsa_float_round_mode_16_64 0
		.amdhsa_float_denorm_mode_32 3
		.amdhsa_float_denorm_mode_16_64 3
		.amdhsa_dx10_clamp 1
		.amdhsa_ieee_mode 1
		.amdhsa_fp16_overflow 0
		.amdhsa_exception_fp_ieee_invalid_op 0
		.amdhsa_exception_fp_denorm_src 0
		.amdhsa_exception_fp_ieee_div_zero 0
		.amdhsa_exception_fp_ieee_overflow 0
		.amdhsa_exception_fp_ieee_underflow 0
		.amdhsa_exception_fp_ieee_inexact 0
		.amdhsa_exception_int_div_zero 0
	.end_amdhsa_kernel
	.section	.text._ZN2at6native30max_unpooling2d_forward_kernelIlEEvlPKT_PKllllllPS2_,"axG",@progbits,_ZN2at6native30max_unpooling2d_forward_kernelIlEEvlPKT_PKllllllPS2_,comdat
.Lfunc_end3:
	.size	_ZN2at6native30max_unpooling2d_forward_kernelIlEEvlPKT_PKllllllPS2_, .Lfunc_end3-_ZN2at6native30max_unpooling2d_forward_kernelIlEEvlPKT_PKllllllPS2_
                                        ; -- End function
	.set _ZN2at6native30max_unpooling2d_forward_kernelIlEEvlPKT_PKllllllPS2_.num_vgpr, 23
	.set _ZN2at6native30max_unpooling2d_forward_kernelIlEEvlPKT_PKllllllPS2_.num_agpr, 0
	.set _ZN2at6native30max_unpooling2d_forward_kernelIlEEvlPKT_PKllllllPS2_.numbered_sgpr, 42
	.set _ZN2at6native30max_unpooling2d_forward_kernelIlEEvlPKT_PKllllllPS2_.num_named_barrier, 0
	.set _ZN2at6native30max_unpooling2d_forward_kernelIlEEvlPKT_PKllllllPS2_.private_seg_size, 0
	.set _ZN2at6native30max_unpooling2d_forward_kernelIlEEvlPKT_PKllllllPS2_.uses_vcc, 1
	.set _ZN2at6native30max_unpooling2d_forward_kernelIlEEvlPKT_PKllllllPS2_.uses_flat_scratch, 0
	.set _ZN2at6native30max_unpooling2d_forward_kernelIlEEvlPKT_PKllllllPS2_.has_dyn_sized_stack, 0
	.set _ZN2at6native30max_unpooling2d_forward_kernelIlEEvlPKT_PKllllllPS2_.has_recursion, 0
	.set _ZN2at6native30max_unpooling2d_forward_kernelIlEEvlPKT_PKllllllPS2_.has_indirect_call, 0
	.section	.AMDGPU.csdata,"",@progbits
; Kernel info:
; codeLenInByte = 2648
; TotalNumSgprs: 46
; NumVgprs: 23
; ScratchSize: 0
; MemoryBound: 0
; FloatMode: 240
; IeeeMode: 1
; LDSByteSize: 0 bytes/workgroup (compile time only)
; SGPRBlocks: 5
; VGPRBlocks: 5
; NumSGPRsForWavesPerEU: 46
; NumVGPRsForWavesPerEU: 23
; Occupancy: 10
; WaveLimiterHint : 1
; COMPUTE_PGM_RSRC2:SCRATCH_EN: 0
; COMPUTE_PGM_RSRC2:USER_SGPR: 6
; COMPUTE_PGM_RSRC2:TRAP_HANDLER: 0
; COMPUTE_PGM_RSRC2:TGID_X_EN: 1
; COMPUTE_PGM_RSRC2:TGID_Y_EN: 0
; COMPUTE_PGM_RSRC2:TGID_Z_EN: 0
; COMPUTE_PGM_RSRC2:TIDIG_COMP_CNT: 0
	.section	.text._ZN2at6native30max_unpooling2d_forward_kernelIsEEvlPKT_PKllllllPS2_,"axG",@progbits,_ZN2at6native30max_unpooling2d_forward_kernelIsEEvlPKT_PKllllllPS2_,comdat
	.protected	_ZN2at6native30max_unpooling2d_forward_kernelIsEEvlPKT_PKllllllPS2_ ; -- Begin function _ZN2at6native30max_unpooling2d_forward_kernelIsEEvlPKT_PKllllllPS2_
	.globl	_ZN2at6native30max_unpooling2d_forward_kernelIsEEvlPKT_PKllllllPS2_
	.p2align	8
	.type	_ZN2at6native30max_unpooling2d_forward_kernelIsEEvlPKT_PKllllllPS2_,@function
_ZN2at6native30max_unpooling2d_forward_kernelIsEEvlPKT_PKllllllPS2_: ; @_ZN2at6native30max_unpooling2d_forward_kernelIsEEvlPKT_PKllllllPS2_
; %bb.0:
	s_load_dword s2, s[4:5], 0x54
	s_load_dwordx16 s[8:23], s[4:5], 0x0
	s_add_u32 s0, s4, 0x48
	v_mov_b32_e32 v2, 0
	s_addc_u32 s1, s5, 0
	s_waitcnt lgkmcnt(0)
	s_and_b32 s7, s2, 0xffff
	v_mov_b32_e32 v1, v2
	v_mov_b32_e32 v3, s6
	v_mad_u64_u32 v[0:1], s[2:3], s7, v3, v[0:1]
	v_cmp_gt_i64_e32 vcc, s[8:9], v[0:1]
	s_and_saveexec_b64 s[2:3], vcc
	s_cbranch_execz .LBB4_18
; %bb.1:
	s_load_dwordx2 s[24:25], s[4:5], 0x40
	s_mul_i32 s2, s22, s21
	s_load_dword s0, s[0:1], 0x0
	s_mul_hi_u32 s3, s22, s20
	v_mov_b32_e32 v3, v0
	s_add_i32 s1, s3, s2
	s_mul_i32 s2, s23, s20
	s_waitcnt lgkmcnt(0)
	s_mul_i32 s33, s0, s7
	v_mov_b32_e32 v4, s24
	v_mov_b32_e32 v7, v3
	s_add_i32 s3, s1, s2
	s_mul_i32 s2, s22, s20
	s_mov_b32 s36, s33
	s_mov_b64 s[4:5], 0
	v_mov_b32_e32 v5, s25
	v_mov_b32_e32 v16, s13
	s_ashr_i32 s20, s19, 31
	v_mov_b32_e32 v6, v2
                                        ; implicit-def: $sgpr6_sgpr7
                                        ; implicit-def: $sgpr24_sgpr25
                                        ; implicit-def: $sgpr22_sgpr23
.LBB4_2:                                ; =>This Inner Loop Header: Depth=1
	v_ashrrev_i64 v[8:9], 29, v[6:7]
	s_or_b64 s[22:23], s[22:23], exec
	v_add_co_u32_e32 v8, vcc, s12, v8
	v_addc_co_u32_e32 v9, vcc, v16, v9, vcc
	global_load_dwordx2 v[8:9], v[8:9], off
	s_or_b64 s[24:25], s[24:25], exec
	s_waitcnt vmcnt(0)
	v_ashrrev_i32_e32 v9, 31, v8
	v_cmp_gt_i64_e32 vcc, s[2:3], v[8:9]
	v_cmp_lt_i32_e64 s[0:1], -1, v8
	s_and_b64 s[0:1], s[0:1], vcc
	s_and_saveexec_b64 s[26:27], s[0:1]
	s_cbranch_execz .LBB4_16
; %bb.3:                                ;   in Loop: Header=BB4_2 Depth=1
	v_ashrrev_i32_e32 v11, 31, v7
	v_or_b32_e32 v3, s19, v11
	v_cmp_ne_u64_e32 vcc, 0, v[2:3]
	v_mov_b32_e32 v10, v7
                                        ; implicit-def: $vgpr14_vgpr15
	s_and_saveexec_b64 s[0:1], vcc
	s_xor_b64 s[28:29], exec, s[0:1]
	s_cbranch_execz .LBB4_5
; %bb.4:                                ;   in Loop: Header=BB4_2 Depth=1
	s_add_u32 s0, s18, s20
	s_mov_b32 s21, s20
	s_addc_u32 s1, s19, s20
	s_xor_b64 s[30:31], s[0:1], s[20:21]
	v_cvt_f32_u32_e32 v3, s30
	v_cvt_f32_u32_e32 v12, s31
	s_sub_u32 s13, 0, s30
	s_subb_u32 s21, 0, s31
	v_mac_f32_e32 v3, 0x4f800000, v12
	v_rcp_f32_e32 v3, v3
	v_mul_f32_e32 v3, 0x5f7ffffc, v3
	v_mul_f32_e32 v12, 0x2f800000, v3
	v_trunc_f32_e32 v12, v12
	v_mac_f32_e32 v3, 0xcf800000, v12
	v_cvt_u32_f32_e32 v12, v12
	v_cvt_u32_f32_e32 v3, v3
	v_readfirstlane_b32 s34, v12
	v_readfirstlane_b32 s0, v3
	s_mul_i32 s1, s13, s34
	s_mul_hi_u32 s37, s13, s0
	s_mul_i32 s35, s21, s0
	s_add_i32 s1, s37, s1
	s_add_i32 s1, s1, s35
	s_mul_i32 s38, s13, s0
	s_mul_i32 s37, s0, s1
	s_mul_hi_u32 s39, s0, s38
	s_mul_hi_u32 s35, s0, s1
	s_add_u32 s37, s39, s37
	s_addc_u32 s35, 0, s35
	s_mul_hi_u32 s40, s34, s38
	s_mul_i32 s38, s34, s38
	s_add_u32 s37, s37, s38
	s_mul_hi_u32 s39, s34, s1
	s_addc_u32 s35, s35, s40
	s_addc_u32 s37, s39, 0
	s_mul_i32 s1, s34, s1
	s_add_u32 s1, s35, s1
	s_addc_u32 s35, 0, s37
	s_add_u32 s37, s0, s1
	s_cselect_b64 s[0:1], -1, 0
	s_cmp_lg_u64 s[0:1], 0
	s_addc_u32 s34, s34, s35
	s_mul_i32 s0, s13, s34
	s_mul_hi_u32 s1, s13, s37
	s_add_i32 s0, s1, s0
	s_mul_i32 s21, s21, s37
	s_add_i32 s0, s0, s21
	s_mul_i32 s13, s13, s37
	s_mul_hi_u32 s21, s34, s13
	s_mul_i32 s35, s34, s13
	s_mul_i32 s39, s37, s0
	s_mul_hi_u32 s13, s37, s13
	s_mul_hi_u32 s38, s37, s0
	s_add_u32 s13, s13, s39
	s_addc_u32 s38, 0, s38
	s_add_u32 s13, s13, s35
	s_mul_hi_u32 s1, s34, s0
	s_addc_u32 s13, s38, s21
	s_addc_u32 s1, s1, 0
	s_mul_i32 s0, s34, s0
	s_add_u32 s0, s13, s0
	s_addc_u32 s13, 0, s1
	s_add_u32 s21, s37, s0
	s_cselect_b64 s[0:1], -1, 0
	v_ashrrev_i32_e32 v3, 31, v11
	s_cmp_lg_u64 s[0:1], 0
	v_add_co_u32_e32 v12, vcc, v10, v3
	s_addc_u32 s13, s34, s13
	v_xor_b32_e32 v17, v12, v3
	v_mad_u64_u32 v[12:13], s[0:1], v17, s13, 0
	v_mul_hi_u32 v15, v17, s21
	v_addc_co_u32_e32 v14, vcc, v11, v3, vcc
	v_xor_b32_e32 v18, v14, v3
	v_add_co_u32_e32 v19, vcc, v15, v12
	v_addc_co_u32_e32 v20, vcc, 0, v13, vcc
	v_mad_u64_u32 v[12:13], s[0:1], v18, s21, 0
	v_mad_u64_u32 v[14:15], s[0:1], v18, s13, 0
	v_add_co_u32_e32 v12, vcc, v19, v12
	v_addc_co_u32_e32 v12, vcc, v20, v13, vcc
	v_addc_co_u32_e32 v13, vcc, 0, v15, vcc
	v_add_co_u32_e32 v14, vcc, v12, v14
	v_addc_co_u32_e32 v15, vcc, 0, v13, vcc
	v_mul_lo_u32 v19, s31, v14
	v_mul_lo_u32 v20, s30, v15
	v_mad_u64_u32 v[12:13], s[0:1], s30, v14, 0
	v_xor_b32_e32 v3, s20, v3
	v_add3_u32 v13, v13, v20, v19
	v_sub_u32_e32 v19, v18, v13
	v_mov_b32_e32 v20, s31
	v_sub_co_u32_e32 v12, vcc, v17, v12
	v_subb_co_u32_e64 v17, s[0:1], v19, v20, vcc
	v_subrev_co_u32_e64 v19, s[0:1], s30, v12
	v_subbrev_co_u32_e64 v17, s[0:1], 0, v17, s[0:1]
	v_cmp_le_u32_e64 s[0:1], s31, v17
	v_cndmask_b32_e64 v20, 0, -1, s[0:1]
	v_cmp_le_u32_e64 s[0:1], s30, v19
	v_cndmask_b32_e64 v19, 0, -1, s[0:1]
	v_cmp_eq_u32_e64 s[0:1], s31, v17
	v_cndmask_b32_e64 v17, v20, v19, s[0:1]
	v_add_co_u32_e64 v19, s[0:1], 2, v14
	v_subb_co_u32_e32 v13, vcc, v18, v13, vcc
	v_addc_co_u32_e64 v20, s[0:1], 0, v15, s[0:1]
	v_cmp_le_u32_e32 vcc, s31, v13
	v_add_co_u32_e64 v21, s[0:1], 1, v14
	v_cndmask_b32_e64 v18, 0, -1, vcc
	v_cmp_le_u32_e32 vcc, s30, v12
	v_addc_co_u32_e64 v22, s[0:1], 0, v15, s[0:1]
	v_cndmask_b32_e64 v12, 0, -1, vcc
	v_cmp_eq_u32_e32 vcc, s31, v13
	v_cmp_ne_u32_e64 s[0:1], 0, v17
	v_cndmask_b32_e32 v12, v18, v12, vcc
	v_cmp_ne_u32_e32 vcc, 0, v12
	v_cndmask_b32_e64 v13, v21, v19, s[0:1]
	v_cndmask_b32_e64 v17, v22, v20, s[0:1]
	v_cndmask_b32_e32 v13, v14, v13, vcc
	v_cndmask_b32_e32 v12, v15, v17, vcc
	v_xor_b32_e32 v13, v13, v3
	v_xor_b32_e32 v12, v12, v3
	v_sub_co_u32_e32 v14, vcc, v13, v3
	v_subb_co_u32_e32 v15, vcc, v12, v3, vcc
.LBB4_5:                                ;   in Loop: Header=BB4_2 Depth=1
	s_andn2_saveexec_b64 s[0:1], s[28:29]
	s_cbranch_execz .LBB4_7
; %bb.6:                                ;   in Loop: Header=BB4_2 Depth=1
	v_cvt_f32_u32_e32 v3, s18
	s_sub_i32 s13, 0, s18
	v_mov_b32_e32 v15, v2
	v_rcp_iflag_f32_e32 v3, v3
	v_mul_f32_e32 v3, 0x4f7ffffe, v3
	v_cvt_u32_f32_e32 v3, v3
	v_mul_lo_u32 v12, s13, v3
	v_mul_hi_u32 v12, v3, v12
	v_add_u32_e32 v3, v3, v12
	v_mul_hi_u32 v3, v7, v3
	v_mul_lo_u32 v12, v3, s18
	v_add_u32_e32 v13, 1, v3
	v_sub_u32_e32 v12, v7, v12
	v_subrev_u32_e32 v14, s18, v12
	v_cmp_le_u32_e32 vcc, s18, v12
	v_cndmask_b32_e32 v12, v12, v14, vcc
	v_cndmask_b32_e32 v3, v3, v13, vcc
	v_add_u32_e32 v13, 1, v3
	v_cmp_le_u32_e32 vcc, s18, v12
	v_cndmask_b32_e32 v14, v3, v13, vcc
.LBB4_7:                                ;   in Loop: Header=BB4_2 Depth=1
	s_or_b64 exec, exec, s[0:1]
	v_or_b32_e32 v3, s17, v15
	v_cmp_ne_u64_e32 vcc, 0, v[2:3]
                                        ; implicit-def: $vgpr12_vgpr13
	s_and_saveexec_b64 s[0:1], vcc
	s_xor_b64 s[28:29], exec, s[0:1]
	s_cbranch_execz .LBB4_9
; %bb.8:                                ;   in Loop: Header=BB4_2 Depth=1
	s_ashr_i32 s30, s17, 31
	s_add_u32 s0, s16, s30
	s_mov_b32 s31, s30
	s_addc_u32 s1, s17, s30
	s_xor_b64 s[34:35], s[0:1], s[30:31]
	v_cvt_f32_u32_e32 v3, s34
	v_cvt_f32_u32_e32 v12, s35
	s_sub_u32 s13, 0, s34
	s_subb_u32 s21, 0, s35
	v_mac_f32_e32 v3, 0x4f800000, v12
	v_rcp_f32_e32 v3, v3
	v_mul_f32_e32 v3, 0x5f7ffffc, v3
	v_mul_f32_e32 v12, 0x2f800000, v3
	v_trunc_f32_e32 v12, v12
	v_mac_f32_e32 v3, 0xcf800000, v12
	v_cvt_u32_f32_e32 v12, v12
	v_cvt_u32_f32_e32 v3, v3
	v_readfirstlane_b32 s31, v12
	v_readfirstlane_b32 s0, v3
	s_mul_i32 s1, s13, s31
	s_mul_hi_u32 s38, s13, s0
	s_mul_i32 s37, s21, s0
	s_add_i32 s1, s38, s1
	s_add_i32 s1, s1, s37
	s_mul_i32 s39, s13, s0
	s_mul_i32 s38, s0, s1
	s_mul_hi_u32 s40, s0, s39
	s_mul_hi_u32 s37, s0, s1
	s_add_u32 s38, s40, s38
	s_addc_u32 s37, 0, s37
	s_mul_hi_u32 s41, s31, s39
	s_mul_i32 s39, s31, s39
	s_add_u32 s38, s38, s39
	s_mul_hi_u32 s40, s31, s1
	s_addc_u32 s37, s37, s41
	s_addc_u32 s38, s40, 0
	s_mul_i32 s1, s31, s1
	s_add_u32 s1, s37, s1
	s_addc_u32 s37, 0, s38
	s_add_u32 s38, s0, s1
	s_cselect_b64 s[0:1], -1, 0
	s_cmp_lg_u64 s[0:1], 0
	s_addc_u32 s31, s31, s37
	s_mul_i32 s0, s13, s31
	s_mul_hi_u32 s1, s13, s38
	s_add_i32 s0, s1, s0
	s_mul_i32 s21, s21, s38
	s_add_i32 s0, s0, s21
	s_mul_i32 s13, s13, s38
	s_mul_hi_u32 s21, s31, s13
	s_mul_i32 s37, s31, s13
	s_mul_i32 s40, s38, s0
	s_mul_hi_u32 s13, s38, s13
	s_mul_hi_u32 s39, s38, s0
	s_add_u32 s13, s13, s40
	s_addc_u32 s39, 0, s39
	s_add_u32 s13, s13, s37
	s_mul_hi_u32 s1, s31, s0
	s_addc_u32 s13, s39, s21
	s_addc_u32 s1, s1, 0
	s_mul_i32 s0, s31, s0
	s_add_u32 s0, s13, s0
	s_addc_u32 s13, 0, s1
	s_add_u32 s21, s38, s0
	s_cselect_b64 s[0:1], -1, 0
	v_ashrrev_i32_e32 v3, 31, v15
	s_cmp_lg_u64 s[0:1], 0
	v_add_co_u32_e32 v12, vcc, v14, v3
	s_addc_u32 s13, s31, s13
	v_xor_b32_e32 v17, v12, v3
	v_addc_co_u32_e32 v14, vcc, v15, v3, vcc
	v_mad_u64_u32 v[12:13], s[0:1], v17, s13, 0
	v_mul_hi_u32 v15, v17, s21
	v_xor_b32_e32 v18, v14, v3
	v_xor_b32_e32 v3, s30, v3
	v_add_co_u32_e32 v19, vcc, v15, v12
	v_addc_co_u32_e32 v20, vcc, 0, v13, vcc
	v_mad_u64_u32 v[12:13], s[0:1], v18, s21, 0
	v_mad_u64_u32 v[14:15], s[0:1], v18, s13, 0
	v_add_co_u32_e32 v12, vcc, v19, v12
	v_addc_co_u32_e32 v12, vcc, v20, v13, vcc
	v_addc_co_u32_e32 v13, vcc, 0, v15, vcc
	v_add_co_u32_e32 v14, vcc, v12, v14
	v_addc_co_u32_e32 v15, vcc, 0, v13, vcc
	v_mul_lo_u32 v19, s35, v14
	v_mul_lo_u32 v20, s34, v15
	v_mad_u64_u32 v[12:13], s[0:1], s34, v14, 0
	v_add3_u32 v13, v13, v20, v19
	v_sub_u32_e32 v19, v18, v13
	v_mov_b32_e32 v20, s35
	v_sub_co_u32_e32 v12, vcc, v17, v12
	v_subb_co_u32_e64 v17, s[0:1], v19, v20, vcc
	v_subrev_co_u32_e64 v19, s[0:1], s34, v12
	v_subbrev_co_u32_e64 v17, s[0:1], 0, v17, s[0:1]
	v_cmp_le_u32_e64 s[0:1], s35, v17
	v_cndmask_b32_e64 v20, 0, -1, s[0:1]
	v_cmp_le_u32_e64 s[0:1], s34, v19
	v_cndmask_b32_e64 v19, 0, -1, s[0:1]
	v_cmp_eq_u32_e64 s[0:1], s35, v17
	v_cndmask_b32_e64 v17, v20, v19, s[0:1]
	v_add_co_u32_e64 v19, s[0:1], 2, v14
	v_subb_co_u32_e32 v13, vcc, v18, v13, vcc
	v_addc_co_u32_e64 v20, s[0:1], 0, v15, s[0:1]
	v_cmp_le_u32_e32 vcc, s35, v13
	v_add_co_u32_e64 v21, s[0:1], 1, v14
	v_cndmask_b32_e64 v18, 0, -1, vcc
	v_cmp_le_u32_e32 vcc, s34, v12
	v_addc_co_u32_e64 v22, s[0:1], 0, v15, s[0:1]
	v_cndmask_b32_e64 v12, 0, -1, vcc
	v_cmp_eq_u32_e32 vcc, s35, v13
	v_cmp_ne_u32_e64 s[0:1], 0, v17
	v_cndmask_b32_e32 v12, v18, v12, vcc
	v_cndmask_b32_e64 v17, v22, v20, s[0:1]
	v_cmp_ne_u32_e32 vcc, 0, v12
	v_cndmask_b32_e64 v13, v21, v19, s[0:1]
	v_cndmask_b32_e32 v12, v15, v17, vcc
	v_cndmask_b32_e32 v13, v14, v13, vcc
	v_xor_b32_e32 v14, v12, v3
	v_xor_b32_e32 v12, v13, v3
	v_sub_co_u32_e32 v12, vcc, v12, v3
	v_subb_co_u32_e32 v13, vcc, v14, v3, vcc
                                        ; implicit-def: $vgpr14_vgpr15
.LBB4_9:                                ;   in Loop: Header=BB4_2 Depth=1
	s_andn2_saveexec_b64 s[0:1], s[28:29]
	s_cbranch_execz .LBB4_11
; %bb.10:                               ;   in Loop: Header=BB4_2 Depth=1
	v_cvt_f32_u32_e32 v3, s16
	s_sub_i32 s13, 0, s16
	v_rcp_iflag_f32_e32 v3, v3
	v_mul_f32_e32 v3, 0x4f7ffffe, v3
	v_cvt_u32_f32_e32 v3, v3
	v_mul_lo_u32 v12, s13, v3
	v_mul_hi_u32 v12, v3, v12
	v_add_u32_e32 v3, v3, v12
	v_mul_hi_u32 v3, v14, v3
	v_mul_lo_u32 v12, v3, s16
	v_add_u32_e32 v13, 1, v3
	v_sub_u32_e32 v12, v14, v12
	v_subrev_u32_e32 v14, s16, v12
	v_cmp_le_u32_e32 vcc, s16, v12
	v_cndmask_b32_e32 v12, v12, v14, vcc
	v_cndmask_b32_e32 v3, v3, v13, vcc
	v_add_u32_e32 v13, 1, v3
	v_cmp_le_u32_e32 vcc, s16, v12
	v_cndmask_b32_e32 v12, v3, v13, vcc
	v_mov_b32_e32 v13, v2
.LBB4_11:                               ;   in Loop: Header=BB4_2 Depth=1
	s_or_b64 exec, exec, s[0:1]
	v_or_b32_e32 v3, s15, v13
	v_cmp_ne_u64_e32 vcc, 0, v[2:3]
                                        ; implicit-def: $vgpr14_vgpr15
	s_and_saveexec_b64 s[0:1], vcc
	s_xor_b64 s[28:29], exec, s[0:1]
	s_cbranch_execz .LBB4_13
; %bb.12:                               ;   in Loop: Header=BB4_2 Depth=1
	s_ashr_i32 s30, s15, 31
	s_add_u32 s0, s14, s30
	s_mov_b32 s31, s30
	s_addc_u32 s1, s15, s30
	s_xor_b64 s[34:35], s[0:1], s[30:31]
	v_cvt_f32_u32_e32 v3, s34
	v_cvt_f32_u32_e32 v14, s35
	s_sub_u32 s13, 0, s34
	s_subb_u32 s21, 0, s35
	v_mac_f32_e32 v3, 0x4f800000, v14
	v_rcp_f32_e32 v3, v3
	v_mul_f32_e32 v3, 0x5f7ffffc, v3
	v_mul_f32_e32 v14, 0x2f800000, v3
	v_trunc_f32_e32 v14, v14
	v_mac_f32_e32 v3, 0xcf800000, v14
	v_cvt_u32_f32_e32 v14, v14
	v_cvt_u32_f32_e32 v3, v3
	v_readfirstlane_b32 s31, v14
	v_readfirstlane_b32 s0, v3
	s_mul_i32 s1, s13, s31
	s_mul_hi_u32 s38, s13, s0
	s_mul_i32 s37, s21, s0
	s_add_i32 s1, s38, s1
	s_add_i32 s1, s1, s37
	s_mul_i32 s39, s13, s0
	s_mul_i32 s38, s0, s1
	s_mul_hi_u32 s40, s0, s39
	s_mul_hi_u32 s37, s0, s1
	s_add_u32 s38, s40, s38
	s_addc_u32 s37, 0, s37
	s_mul_hi_u32 s41, s31, s39
	s_mul_i32 s39, s31, s39
	s_add_u32 s38, s38, s39
	s_mul_hi_u32 s40, s31, s1
	s_addc_u32 s37, s37, s41
	s_addc_u32 s38, s40, 0
	s_mul_i32 s1, s31, s1
	s_add_u32 s1, s37, s1
	s_addc_u32 s37, 0, s38
	s_add_u32 s38, s0, s1
	s_cselect_b64 s[0:1], -1, 0
	s_cmp_lg_u64 s[0:1], 0
	s_addc_u32 s31, s31, s37
	s_mul_i32 s0, s13, s31
	s_mul_hi_u32 s1, s13, s38
	s_add_i32 s0, s1, s0
	s_mul_i32 s21, s21, s38
	s_add_i32 s0, s0, s21
	s_mul_i32 s13, s13, s38
	s_mul_hi_u32 s21, s31, s13
	s_mul_i32 s37, s31, s13
	s_mul_i32 s40, s38, s0
	s_mul_hi_u32 s13, s38, s13
	s_mul_hi_u32 s39, s38, s0
	s_add_u32 s13, s13, s40
	s_addc_u32 s39, 0, s39
	s_add_u32 s13, s13, s37
	s_mul_hi_u32 s1, s31, s0
	s_addc_u32 s13, s39, s21
	s_addc_u32 s1, s1, 0
	s_mul_i32 s0, s31, s0
	s_add_u32 s0, s13, s0
	s_addc_u32 s13, 0, s1
	s_add_u32 s21, s38, s0
	s_cselect_b64 s[0:1], -1, 0
	v_ashrrev_i32_e32 v3, 31, v13
	s_cmp_lg_u64 s[0:1], 0
	v_add_co_u32_e32 v14, vcc, v12, v3
	s_addc_u32 s13, s31, s13
	v_xor_b32_e32 v19, v14, v3
	v_addc_co_u32_e32 v15, vcc, v13, v3, vcc
	v_mad_u64_u32 v[13:14], s[0:1], v19, s13, 0
	v_mul_hi_u32 v17, v19, s21
	v_xor_b32_e32 v15, v15, v3
	v_xor_b32_e32 v3, s30, v3
	v_add_co_u32_e32 v20, vcc, v17, v13
	v_addc_co_u32_e32 v21, vcc, 0, v14, vcc
	v_mad_u64_u32 v[13:14], s[0:1], v15, s21, 0
	v_mad_u64_u32 v[17:18], s[0:1], v15, s13, 0
	v_add_co_u32_e32 v13, vcc, v20, v13
	v_addc_co_u32_e32 v13, vcc, v21, v14, vcc
	v_addc_co_u32_e32 v14, vcc, 0, v18, vcc
	v_add_co_u32_e32 v17, vcc, v13, v17
	v_addc_co_u32_e32 v13, vcc, 0, v14, vcc
	v_mul_lo_u32 v18, s35, v17
	v_mul_lo_u32 v20, s34, v13
	v_mad_u64_u32 v[13:14], s[0:1], s34, v17, 0
	v_add3_u32 v14, v14, v20, v18
	v_sub_u32_e32 v18, v15, v14
	v_mov_b32_e32 v20, s35
	v_sub_co_u32_e32 v13, vcc, v19, v13
	v_subb_co_u32_e64 v18, s[0:1], v18, v20, vcc
	v_subrev_co_u32_e64 v19, s[0:1], s34, v13
	v_subbrev_co_u32_e64 v18, s[0:1], 0, v18, s[0:1]
	v_cmp_le_u32_e64 s[0:1], s35, v18
	v_subb_co_u32_e32 v14, vcc, v15, v14, vcc
	v_cndmask_b32_e64 v20, 0, -1, s[0:1]
	v_cmp_le_u32_e64 s[0:1], s34, v19
	v_cmp_le_u32_e32 vcc, s35, v14
	v_cndmask_b32_e64 v19, 0, -1, s[0:1]
	v_cmp_eq_u32_e64 s[0:1], s35, v18
	v_cndmask_b32_e64 v15, 0, -1, vcc
	v_cmp_le_u32_e32 vcc, s34, v13
	v_cndmask_b32_e64 v18, v20, v19, s[0:1]
	v_cndmask_b32_e64 v13, 0, -1, vcc
	v_cmp_eq_u32_e32 vcc, s35, v14
	v_add_co_u32_e64 v19, s[0:1], 2, v17
	v_add_co_u32_e64 v20, s[0:1], 1, v17
	v_cndmask_b32_e32 v13, v15, v13, vcc
	v_cmp_ne_u32_e32 vcc, 0, v18
	v_cndmask_b32_e32 v14, v20, v19, vcc
	v_cmp_ne_u32_e32 vcc, 0, v13
	v_cndmask_b32_e32 v13, v17, v14, vcc
	v_xor_b32_e32 v13, v13, v3
	v_sub_co_u32_e32 v14, vcc, v13, v3
.LBB4_13:                               ;   in Loop: Header=BB4_2 Depth=1
	s_andn2_saveexec_b64 s[0:1], s[28:29]
	s_cbranch_execz .LBB4_15
; %bb.14:                               ;   in Loop: Header=BB4_2 Depth=1
	v_cvt_f32_u32_e32 v3, s14
	s_sub_i32 s13, 0, s14
	v_rcp_iflag_f32_e32 v3, v3
	v_mul_f32_e32 v3, 0x4f7ffffe, v3
	v_cvt_u32_f32_e32 v3, v3
	v_mul_lo_u32 v13, s13, v3
	v_mul_hi_u32 v13, v3, v13
	v_add_u32_e32 v3, v3, v13
	v_mul_hi_u32 v3, v12, v3
	v_mul_lo_u32 v13, v3, s14
	v_add_u32_e32 v14, 1, v3
	v_sub_u32_e32 v13, v12, v13
	v_subrev_u32_e32 v15, s14, v13
	v_cmp_le_u32_e32 vcc, s14, v13
	v_cndmask_b32_e32 v13, v13, v15, vcc
	v_cndmask_b32_e32 v3, v3, v14, vcc
	v_add_u32_e32 v14, 1, v3
	v_cmp_le_u32_e32 vcc, s14, v13
	v_cndmask_b32_e32 v14, v3, v14, vcc
.LBB4_15:                               ;   in Loop: Header=BB4_2 Depth=1
	s_or_b64 exec, exec, s[0:1]
	v_lshlrev_b64 v[10:11], 1, v[10:11]
	v_mov_b32_e32 v3, s11
	v_add_co_u32_e32 v10, vcc, s10, v10
	v_addc_co_u32_e32 v11, vcc, v3, v11, vcc
	global_load_ushort v3, v[10:11], off
	v_mul_lo_u32 v11, v14, s14
	v_ashrrev_i32_e32 v10, 31, v14
	v_mul_lo_u32 v17, v10, s14
	v_mul_lo_u32 v13, v14, s15
	v_sub_u32_e32 v10, v12, v11
	v_ashrrev_i32_e32 v11, 31, v10
	v_mad_u64_u32 v[10:11], s[0:1], v14, s14, v[10:11]
	v_add_co_u32_e32 v0, vcc, s33, v0
	v_add3_u32 v12, v17, v11, v13
	v_mul_lo_u32 v13, s3, v10
	v_mad_u64_u32 v[10:11], s[0:1], s2, v10, 0
	v_mul_lo_u32 v12, s2, v12
	v_addc_co_u32_e32 v1, vcc, 0, v1, vcc
	v_mov_b32_e32 v15, s36
	v_add3_u32 v11, v11, v12, v13
	v_cmp_le_i64_e32 vcc, s[8:9], v[0:1]
	v_add_co_u32_e64 v6, s[0:1], 0, v6
	v_lshlrev_b64 v[10:11], 1, v[10:11]
	v_addc_co_u32_e64 v7, s[0:1], v7, v15, s[0:1]
	v_lshlrev_b64 v[8:9], 1, v[8:9]
	s_and_b64 s[0:1], vcc, exec
	v_add_co_u32_e32 v4, vcc, v4, v10
	v_addc_co_u32_e32 v5, vcc, v5, v11, vcc
	s_andn2_b64 s[24:25], s[24:25], exec
	v_add_co_u32_e32 v8, vcc, v4, v8
	s_andn2_b64 s[22:23], s[22:23], exec
	v_addc_co_u32_e32 v9, vcc, v5, v9, vcc
	s_or_b64 s[24:25], s[24:25], s[0:1]
	s_waitcnt vmcnt(0)
	global_store_short v[8:9], v3, off
.LBB4_16:                               ;   in Loop: Header=BB4_2 Depth=1
	s_or_b64 exec, exec, s[26:27]
	s_and_b64 s[0:1], exec, s[24:25]
	s_or_b64 s[4:5], s[0:1], s[4:5]
	s_andn2_b64 s[0:1], s[6:7], exec
	s_and_b64 s[6:7], s[22:23], exec
	s_or_b64 s[6:7], s[0:1], s[6:7]
	s_andn2_b64 exec, exec, s[4:5]
	s_cbranch_execnz .LBB4_2
; %bb.17:
	s_or_b64 exec, exec, s[4:5]
	s_and_saveexec_b64 s[0:1], s[6:7]
	s_xor_b64 s[0:1], exec, s[0:1]
	s_cbranch_execnz .LBB4_19
.LBB4_18:
	s_endpgm
.LBB4_19:
	s_trap 2
	; divergent unreachable
	s_endpgm
	.section	.rodata,"a",@progbits
	.p2align	6, 0x0
	.amdhsa_kernel _ZN2at6native30max_unpooling2d_forward_kernelIsEEvlPKT_PKllllllPS2_
		.amdhsa_group_segment_fixed_size 0
		.amdhsa_private_segment_fixed_size 0
		.amdhsa_kernarg_size 328
		.amdhsa_user_sgpr_count 6
		.amdhsa_user_sgpr_private_segment_buffer 1
		.amdhsa_user_sgpr_dispatch_ptr 0
		.amdhsa_user_sgpr_queue_ptr 0
		.amdhsa_user_sgpr_kernarg_segment_ptr 1
		.amdhsa_user_sgpr_dispatch_id 0
		.amdhsa_user_sgpr_flat_scratch_init 0
		.amdhsa_user_sgpr_private_segment_size 0
		.amdhsa_uses_dynamic_stack 0
		.amdhsa_system_sgpr_private_segment_wavefront_offset 0
		.amdhsa_system_sgpr_workgroup_id_x 1
		.amdhsa_system_sgpr_workgroup_id_y 0
		.amdhsa_system_sgpr_workgroup_id_z 0
		.amdhsa_system_sgpr_workgroup_info 0
		.amdhsa_system_vgpr_workitem_id 0
		.amdhsa_next_free_vgpr 23
		.amdhsa_next_free_sgpr 42
		.amdhsa_reserve_vcc 1
		.amdhsa_reserve_flat_scratch 0
		.amdhsa_float_round_mode_32 0
		.amdhsa_float_round_mode_16_64 0
		.amdhsa_float_denorm_mode_32 3
		.amdhsa_float_denorm_mode_16_64 3
		.amdhsa_dx10_clamp 1
		.amdhsa_ieee_mode 1
		.amdhsa_fp16_overflow 0
		.amdhsa_exception_fp_ieee_invalid_op 0
		.amdhsa_exception_fp_denorm_src 0
		.amdhsa_exception_fp_ieee_div_zero 0
		.amdhsa_exception_fp_ieee_overflow 0
		.amdhsa_exception_fp_ieee_underflow 0
		.amdhsa_exception_fp_ieee_inexact 0
		.amdhsa_exception_int_div_zero 0
	.end_amdhsa_kernel
	.section	.text._ZN2at6native30max_unpooling2d_forward_kernelIsEEvlPKT_PKllllllPS2_,"axG",@progbits,_ZN2at6native30max_unpooling2d_forward_kernelIsEEvlPKT_PKllllllPS2_,comdat
.Lfunc_end4:
	.size	_ZN2at6native30max_unpooling2d_forward_kernelIsEEvlPKT_PKllllllPS2_, .Lfunc_end4-_ZN2at6native30max_unpooling2d_forward_kernelIsEEvlPKT_PKllllllPS2_
                                        ; -- End function
	.set _ZN2at6native30max_unpooling2d_forward_kernelIsEEvlPKT_PKllllllPS2_.num_vgpr, 23
	.set _ZN2at6native30max_unpooling2d_forward_kernelIsEEvlPKT_PKllllllPS2_.num_agpr, 0
	.set _ZN2at6native30max_unpooling2d_forward_kernelIsEEvlPKT_PKllllllPS2_.numbered_sgpr, 42
	.set _ZN2at6native30max_unpooling2d_forward_kernelIsEEvlPKT_PKllllllPS2_.num_named_barrier, 0
	.set _ZN2at6native30max_unpooling2d_forward_kernelIsEEvlPKT_PKllllllPS2_.private_seg_size, 0
	.set _ZN2at6native30max_unpooling2d_forward_kernelIsEEvlPKT_PKllllllPS2_.uses_vcc, 1
	.set _ZN2at6native30max_unpooling2d_forward_kernelIsEEvlPKT_PKllllllPS2_.uses_flat_scratch, 0
	.set _ZN2at6native30max_unpooling2d_forward_kernelIsEEvlPKT_PKllllllPS2_.has_dyn_sized_stack, 0
	.set _ZN2at6native30max_unpooling2d_forward_kernelIsEEvlPKT_PKllllllPS2_.has_recursion, 0
	.set _ZN2at6native30max_unpooling2d_forward_kernelIsEEvlPKT_PKllllllPS2_.has_indirect_call, 0
	.section	.AMDGPU.csdata,"",@progbits
; Kernel info:
; codeLenInByte = 2648
; TotalNumSgprs: 46
; NumVgprs: 23
; ScratchSize: 0
; MemoryBound: 0
; FloatMode: 240
; IeeeMode: 1
; LDSByteSize: 0 bytes/workgroup (compile time only)
; SGPRBlocks: 5
; VGPRBlocks: 5
; NumSGPRsForWavesPerEU: 46
; NumVGPRsForWavesPerEU: 23
; Occupancy: 10
; WaveLimiterHint : 1
; COMPUTE_PGM_RSRC2:SCRATCH_EN: 0
; COMPUTE_PGM_RSRC2:USER_SGPR: 6
; COMPUTE_PGM_RSRC2:TRAP_HANDLER: 0
; COMPUTE_PGM_RSRC2:TGID_X_EN: 1
; COMPUTE_PGM_RSRC2:TGID_Y_EN: 0
; COMPUTE_PGM_RSRC2:TGID_Z_EN: 0
; COMPUTE_PGM_RSRC2:TIDIG_COMP_CNT: 0
	.section	.text._ZN2at6native30max_unpooling2d_forward_kernelIdEEvlPKT_PKllllllPS2_,"axG",@progbits,_ZN2at6native30max_unpooling2d_forward_kernelIdEEvlPKT_PKllllllPS2_,comdat
	.protected	_ZN2at6native30max_unpooling2d_forward_kernelIdEEvlPKT_PKllllllPS2_ ; -- Begin function _ZN2at6native30max_unpooling2d_forward_kernelIdEEvlPKT_PKllllllPS2_
	.globl	_ZN2at6native30max_unpooling2d_forward_kernelIdEEvlPKT_PKllllllPS2_
	.p2align	8
	.type	_ZN2at6native30max_unpooling2d_forward_kernelIdEEvlPKT_PKllllllPS2_,@function
_ZN2at6native30max_unpooling2d_forward_kernelIdEEvlPKT_PKllllllPS2_: ; @_ZN2at6native30max_unpooling2d_forward_kernelIdEEvlPKT_PKllllllPS2_
; %bb.0:
	s_load_dword s2, s[4:5], 0x54
	s_load_dwordx16 s[8:23], s[4:5], 0x0
	s_add_u32 s0, s4, 0x48
	v_mov_b32_e32 v2, 0
	s_addc_u32 s1, s5, 0
	s_waitcnt lgkmcnt(0)
	s_and_b32 s7, s2, 0xffff
	v_mov_b32_e32 v1, v2
	v_mov_b32_e32 v3, s6
	v_mad_u64_u32 v[0:1], s[2:3], s7, v3, v[0:1]
	v_cmp_gt_i64_e32 vcc, s[8:9], v[0:1]
	s_and_saveexec_b64 s[2:3], vcc
	s_cbranch_execz .LBB5_18
; %bb.1:
	s_load_dwordx2 s[24:25], s[4:5], 0x40
	s_mul_i32 s2, s22, s21
	s_load_dword s0, s[0:1], 0x0
	s_mul_hi_u32 s3, s22, s20
	v_mov_b32_e32 v3, v0
	s_add_i32 s1, s3, s2
	s_mul_i32 s2, s23, s20
	s_waitcnt lgkmcnt(0)
	s_mul_i32 s33, s0, s7
	v_mov_b32_e32 v4, s24
	v_mov_b32_e32 v7, v3
	s_add_i32 s3, s1, s2
	s_mul_i32 s2, s22, s20
	s_mov_b32 s36, s33
	s_mov_b64 s[4:5], 0
	v_mov_b32_e32 v5, s25
	v_mov_b32_e32 v16, s13
	s_ashr_i32 s20, s19, 31
	v_mov_b32_e32 v6, v2
                                        ; implicit-def: $sgpr6_sgpr7
                                        ; implicit-def: $sgpr24_sgpr25
                                        ; implicit-def: $sgpr22_sgpr23
.LBB5_2:                                ; =>This Inner Loop Header: Depth=1
	v_ashrrev_i64 v[8:9], 29, v[6:7]
	s_or_b64 s[22:23], s[22:23], exec
	v_add_co_u32_e32 v8, vcc, s12, v8
	v_addc_co_u32_e32 v9, vcc, v16, v9, vcc
	global_load_dwordx2 v[8:9], v[8:9], off
	s_or_b64 s[24:25], s[24:25], exec
	s_waitcnt vmcnt(0)
	v_ashrrev_i32_e32 v9, 31, v8
	v_cmp_gt_i64_e32 vcc, s[2:3], v[8:9]
	v_cmp_lt_i32_e64 s[0:1], -1, v8
	s_and_b64 s[0:1], s[0:1], vcc
	s_and_saveexec_b64 s[26:27], s[0:1]
	s_cbranch_execz .LBB5_16
; %bb.3:                                ;   in Loop: Header=BB5_2 Depth=1
	v_ashrrev_i32_e32 v11, 31, v7
	v_or_b32_e32 v3, s19, v11
	v_cmp_ne_u64_e32 vcc, 0, v[2:3]
	v_mov_b32_e32 v10, v7
                                        ; implicit-def: $vgpr14_vgpr15
	s_and_saveexec_b64 s[0:1], vcc
	s_xor_b64 s[28:29], exec, s[0:1]
	s_cbranch_execz .LBB5_5
; %bb.4:                                ;   in Loop: Header=BB5_2 Depth=1
	s_add_u32 s0, s18, s20
	s_mov_b32 s21, s20
	s_addc_u32 s1, s19, s20
	s_xor_b64 s[30:31], s[0:1], s[20:21]
	v_cvt_f32_u32_e32 v3, s30
	v_cvt_f32_u32_e32 v12, s31
	s_sub_u32 s13, 0, s30
	s_subb_u32 s21, 0, s31
	v_mac_f32_e32 v3, 0x4f800000, v12
	v_rcp_f32_e32 v3, v3
	v_mul_f32_e32 v3, 0x5f7ffffc, v3
	v_mul_f32_e32 v12, 0x2f800000, v3
	v_trunc_f32_e32 v12, v12
	v_mac_f32_e32 v3, 0xcf800000, v12
	v_cvt_u32_f32_e32 v12, v12
	v_cvt_u32_f32_e32 v3, v3
	v_readfirstlane_b32 s34, v12
	v_readfirstlane_b32 s0, v3
	s_mul_i32 s1, s13, s34
	s_mul_hi_u32 s37, s13, s0
	s_mul_i32 s35, s21, s0
	s_add_i32 s1, s37, s1
	s_add_i32 s1, s1, s35
	s_mul_i32 s38, s13, s0
	s_mul_i32 s37, s0, s1
	s_mul_hi_u32 s39, s0, s38
	s_mul_hi_u32 s35, s0, s1
	s_add_u32 s37, s39, s37
	s_addc_u32 s35, 0, s35
	s_mul_hi_u32 s40, s34, s38
	s_mul_i32 s38, s34, s38
	s_add_u32 s37, s37, s38
	s_mul_hi_u32 s39, s34, s1
	s_addc_u32 s35, s35, s40
	s_addc_u32 s37, s39, 0
	s_mul_i32 s1, s34, s1
	s_add_u32 s1, s35, s1
	s_addc_u32 s35, 0, s37
	s_add_u32 s37, s0, s1
	s_cselect_b64 s[0:1], -1, 0
	s_cmp_lg_u64 s[0:1], 0
	s_addc_u32 s34, s34, s35
	s_mul_i32 s0, s13, s34
	s_mul_hi_u32 s1, s13, s37
	s_add_i32 s0, s1, s0
	s_mul_i32 s21, s21, s37
	s_add_i32 s0, s0, s21
	s_mul_i32 s13, s13, s37
	s_mul_hi_u32 s21, s34, s13
	s_mul_i32 s35, s34, s13
	s_mul_i32 s39, s37, s0
	s_mul_hi_u32 s13, s37, s13
	s_mul_hi_u32 s38, s37, s0
	s_add_u32 s13, s13, s39
	s_addc_u32 s38, 0, s38
	s_add_u32 s13, s13, s35
	s_mul_hi_u32 s1, s34, s0
	s_addc_u32 s13, s38, s21
	s_addc_u32 s1, s1, 0
	s_mul_i32 s0, s34, s0
	s_add_u32 s0, s13, s0
	s_addc_u32 s13, 0, s1
	s_add_u32 s21, s37, s0
	s_cselect_b64 s[0:1], -1, 0
	v_ashrrev_i32_e32 v3, 31, v11
	s_cmp_lg_u64 s[0:1], 0
	v_add_co_u32_e32 v12, vcc, v10, v3
	s_addc_u32 s13, s34, s13
	v_xor_b32_e32 v17, v12, v3
	v_mad_u64_u32 v[12:13], s[0:1], v17, s13, 0
	v_mul_hi_u32 v15, v17, s21
	v_addc_co_u32_e32 v14, vcc, v11, v3, vcc
	v_xor_b32_e32 v18, v14, v3
	v_add_co_u32_e32 v19, vcc, v15, v12
	v_addc_co_u32_e32 v20, vcc, 0, v13, vcc
	v_mad_u64_u32 v[12:13], s[0:1], v18, s21, 0
	v_mad_u64_u32 v[14:15], s[0:1], v18, s13, 0
	v_add_co_u32_e32 v12, vcc, v19, v12
	v_addc_co_u32_e32 v12, vcc, v20, v13, vcc
	v_addc_co_u32_e32 v13, vcc, 0, v15, vcc
	v_add_co_u32_e32 v14, vcc, v12, v14
	v_addc_co_u32_e32 v15, vcc, 0, v13, vcc
	v_mul_lo_u32 v19, s31, v14
	v_mul_lo_u32 v20, s30, v15
	v_mad_u64_u32 v[12:13], s[0:1], s30, v14, 0
	v_xor_b32_e32 v3, s20, v3
	v_add3_u32 v13, v13, v20, v19
	v_sub_u32_e32 v19, v18, v13
	v_mov_b32_e32 v20, s31
	v_sub_co_u32_e32 v12, vcc, v17, v12
	v_subb_co_u32_e64 v17, s[0:1], v19, v20, vcc
	v_subrev_co_u32_e64 v19, s[0:1], s30, v12
	v_subbrev_co_u32_e64 v17, s[0:1], 0, v17, s[0:1]
	v_cmp_le_u32_e64 s[0:1], s31, v17
	v_cndmask_b32_e64 v20, 0, -1, s[0:1]
	v_cmp_le_u32_e64 s[0:1], s30, v19
	v_cndmask_b32_e64 v19, 0, -1, s[0:1]
	v_cmp_eq_u32_e64 s[0:1], s31, v17
	v_cndmask_b32_e64 v17, v20, v19, s[0:1]
	v_add_co_u32_e64 v19, s[0:1], 2, v14
	v_subb_co_u32_e32 v13, vcc, v18, v13, vcc
	v_addc_co_u32_e64 v20, s[0:1], 0, v15, s[0:1]
	v_cmp_le_u32_e32 vcc, s31, v13
	v_add_co_u32_e64 v21, s[0:1], 1, v14
	v_cndmask_b32_e64 v18, 0, -1, vcc
	v_cmp_le_u32_e32 vcc, s30, v12
	v_addc_co_u32_e64 v22, s[0:1], 0, v15, s[0:1]
	v_cndmask_b32_e64 v12, 0, -1, vcc
	v_cmp_eq_u32_e32 vcc, s31, v13
	v_cmp_ne_u32_e64 s[0:1], 0, v17
	v_cndmask_b32_e32 v12, v18, v12, vcc
	v_cmp_ne_u32_e32 vcc, 0, v12
	v_cndmask_b32_e64 v13, v21, v19, s[0:1]
	v_cndmask_b32_e64 v17, v22, v20, s[0:1]
	v_cndmask_b32_e32 v13, v14, v13, vcc
	v_cndmask_b32_e32 v12, v15, v17, vcc
	v_xor_b32_e32 v13, v13, v3
	v_xor_b32_e32 v12, v12, v3
	v_sub_co_u32_e32 v14, vcc, v13, v3
	v_subb_co_u32_e32 v15, vcc, v12, v3, vcc
.LBB5_5:                                ;   in Loop: Header=BB5_2 Depth=1
	s_andn2_saveexec_b64 s[0:1], s[28:29]
	s_cbranch_execz .LBB5_7
; %bb.6:                                ;   in Loop: Header=BB5_2 Depth=1
	v_cvt_f32_u32_e32 v3, s18
	s_sub_i32 s13, 0, s18
	v_mov_b32_e32 v15, v2
	v_rcp_iflag_f32_e32 v3, v3
	v_mul_f32_e32 v3, 0x4f7ffffe, v3
	v_cvt_u32_f32_e32 v3, v3
	v_mul_lo_u32 v12, s13, v3
	v_mul_hi_u32 v12, v3, v12
	v_add_u32_e32 v3, v3, v12
	v_mul_hi_u32 v3, v7, v3
	v_mul_lo_u32 v12, v3, s18
	v_add_u32_e32 v13, 1, v3
	v_sub_u32_e32 v12, v7, v12
	v_subrev_u32_e32 v14, s18, v12
	v_cmp_le_u32_e32 vcc, s18, v12
	v_cndmask_b32_e32 v12, v12, v14, vcc
	v_cndmask_b32_e32 v3, v3, v13, vcc
	v_add_u32_e32 v13, 1, v3
	v_cmp_le_u32_e32 vcc, s18, v12
	v_cndmask_b32_e32 v14, v3, v13, vcc
.LBB5_7:                                ;   in Loop: Header=BB5_2 Depth=1
	s_or_b64 exec, exec, s[0:1]
	v_or_b32_e32 v3, s17, v15
	v_cmp_ne_u64_e32 vcc, 0, v[2:3]
                                        ; implicit-def: $vgpr12_vgpr13
	s_and_saveexec_b64 s[0:1], vcc
	s_xor_b64 s[28:29], exec, s[0:1]
	s_cbranch_execz .LBB5_9
; %bb.8:                                ;   in Loop: Header=BB5_2 Depth=1
	s_ashr_i32 s30, s17, 31
	s_add_u32 s0, s16, s30
	s_mov_b32 s31, s30
	s_addc_u32 s1, s17, s30
	s_xor_b64 s[34:35], s[0:1], s[30:31]
	v_cvt_f32_u32_e32 v3, s34
	v_cvt_f32_u32_e32 v12, s35
	s_sub_u32 s13, 0, s34
	s_subb_u32 s21, 0, s35
	v_mac_f32_e32 v3, 0x4f800000, v12
	v_rcp_f32_e32 v3, v3
	v_mul_f32_e32 v3, 0x5f7ffffc, v3
	v_mul_f32_e32 v12, 0x2f800000, v3
	v_trunc_f32_e32 v12, v12
	v_mac_f32_e32 v3, 0xcf800000, v12
	v_cvt_u32_f32_e32 v12, v12
	v_cvt_u32_f32_e32 v3, v3
	v_readfirstlane_b32 s31, v12
	v_readfirstlane_b32 s0, v3
	s_mul_i32 s1, s13, s31
	s_mul_hi_u32 s38, s13, s0
	s_mul_i32 s37, s21, s0
	s_add_i32 s1, s38, s1
	s_add_i32 s1, s1, s37
	s_mul_i32 s39, s13, s0
	s_mul_i32 s38, s0, s1
	s_mul_hi_u32 s40, s0, s39
	s_mul_hi_u32 s37, s0, s1
	s_add_u32 s38, s40, s38
	s_addc_u32 s37, 0, s37
	s_mul_hi_u32 s41, s31, s39
	s_mul_i32 s39, s31, s39
	s_add_u32 s38, s38, s39
	s_mul_hi_u32 s40, s31, s1
	s_addc_u32 s37, s37, s41
	s_addc_u32 s38, s40, 0
	s_mul_i32 s1, s31, s1
	s_add_u32 s1, s37, s1
	s_addc_u32 s37, 0, s38
	s_add_u32 s38, s0, s1
	s_cselect_b64 s[0:1], -1, 0
	s_cmp_lg_u64 s[0:1], 0
	s_addc_u32 s31, s31, s37
	s_mul_i32 s0, s13, s31
	s_mul_hi_u32 s1, s13, s38
	s_add_i32 s0, s1, s0
	s_mul_i32 s21, s21, s38
	s_add_i32 s0, s0, s21
	s_mul_i32 s13, s13, s38
	s_mul_hi_u32 s21, s31, s13
	s_mul_i32 s37, s31, s13
	s_mul_i32 s40, s38, s0
	s_mul_hi_u32 s13, s38, s13
	s_mul_hi_u32 s39, s38, s0
	s_add_u32 s13, s13, s40
	s_addc_u32 s39, 0, s39
	s_add_u32 s13, s13, s37
	s_mul_hi_u32 s1, s31, s0
	s_addc_u32 s13, s39, s21
	s_addc_u32 s1, s1, 0
	s_mul_i32 s0, s31, s0
	s_add_u32 s0, s13, s0
	s_addc_u32 s13, 0, s1
	s_add_u32 s21, s38, s0
	s_cselect_b64 s[0:1], -1, 0
	v_ashrrev_i32_e32 v3, 31, v15
	s_cmp_lg_u64 s[0:1], 0
	v_add_co_u32_e32 v12, vcc, v14, v3
	s_addc_u32 s13, s31, s13
	v_xor_b32_e32 v17, v12, v3
	v_addc_co_u32_e32 v14, vcc, v15, v3, vcc
	v_mad_u64_u32 v[12:13], s[0:1], v17, s13, 0
	v_mul_hi_u32 v15, v17, s21
	v_xor_b32_e32 v18, v14, v3
	v_xor_b32_e32 v3, s30, v3
	v_add_co_u32_e32 v19, vcc, v15, v12
	v_addc_co_u32_e32 v20, vcc, 0, v13, vcc
	v_mad_u64_u32 v[12:13], s[0:1], v18, s21, 0
	v_mad_u64_u32 v[14:15], s[0:1], v18, s13, 0
	v_add_co_u32_e32 v12, vcc, v19, v12
	v_addc_co_u32_e32 v12, vcc, v20, v13, vcc
	v_addc_co_u32_e32 v13, vcc, 0, v15, vcc
	v_add_co_u32_e32 v14, vcc, v12, v14
	v_addc_co_u32_e32 v15, vcc, 0, v13, vcc
	v_mul_lo_u32 v19, s35, v14
	v_mul_lo_u32 v20, s34, v15
	v_mad_u64_u32 v[12:13], s[0:1], s34, v14, 0
	v_add3_u32 v13, v13, v20, v19
	v_sub_u32_e32 v19, v18, v13
	v_mov_b32_e32 v20, s35
	v_sub_co_u32_e32 v12, vcc, v17, v12
	v_subb_co_u32_e64 v17, s[0:1], v19, v20, vcc
	v_subrev_co_u32_e64 v19, s[0:1], s34, v12
	v_subbrev_co_u32_e64 v17, s[0:1], 0, v17, s[0:1]
	v_cmp_le_u32_e64 s[0:1], s35, v17
	v_cndmask_b32_e64 v20, 0, -1, s[0:1]
	v_cmp_le_u32_e64 s[0:1], s34, v19
	v_cndmask_b32_e64 v19, 0, -1, s[0:1]
	v_cmp_eq_u32_e64 s[0:1], s35, v17
	v_cndmask_b32_e64 v17, v20, v19, s[0:1]
	v_add_co_u32_e64 v19, s[0:1], 2, v14
	v_subb_co_u32_e32 v13, vcc, v18, v13, vcc
	v_addc_co_u32_e64 v20, s[0:1], 0, v15, s[0:1]
	v_cmp_le_u32_e32 vcc, s35, v13
	v_add_co_u32_e64 v21, s[0:1], 1, v14
	v_cndmask_b32_e64 v18, 0, -1, vcc
	v_cmp_le_u32_e32 vcc, s34, v12
	v_addc_co_u32_e64 v22, s[0:1], 0, v15, s[0:1]
	v_cndmask_b32_e64 v12, 0, -1, vcc
	v_cmp_eq_u32_e32 vcc, s35, v13
	v_cmp_ne_u32_e64 s[0:1], 0, v17
	v_cndmask_b32_e32 v12, v18, v12, vcc
	v_cndmask_b32_e64 v17, v22, v20, s[0:1]
	v_cmp_ne_u32_e32 vcc, 0, v12
	v_cndmask_b32_e64 v13, v21, v19, s[0:1]
	v_cndmask_b32_e32 v12, v15, v17, vcc
	v_cndmask_b32_e32 v13, v14, v13, vcc
	v_xor_b32_e32 v14, v12, v3
	v_xor_b32_e32 v12, v13, v3
	v_sub_co_u32_e32 v12, vcc, v12, v3
	v_subb_co_u32_e32 v13, vcc, v14, v3, vcc
                                        ; implicit-def: $vgpr14_vgpr15
.LBB5_9:                                ;   in Loop: Header=BB5_2 Depth=1
	s_andn2_saveexec_b64 s[0:1], s[28:29]
	s_cbranch_execz .LBB5_11
; %bb.10:                               ;   in Loop: Header=BB5_2 Depth=1
	v_cvt_f32_u32_e32 v3, s16
	s_sub_i32 s13, 0, s16
	v_rcp_iflag_f32_e32 v3, v3
	v_mul_f32_e32 v3, 0x4f7ffffe, v3
	v_cvt_u32_f32_e32 v3, v3
	v_mul_lo_u32 v12, s13, v3
	v_mul_hi_u32 v12, v3, v12
	v_add_u32_e32 v3, v3, v12
	v_mul_hi_u32 v3, v14, v3
	v_mul_lo_u32 v12, v3, s16
	v_add_u32_e32 v13, 1, v3
	v_sub_u32_e32 v12, v14, v12
	v_subrev_u32_e32 v14, s16, v12
	v_cmp_le_u32_e32 vcc, s16, v12
	v_cndmask_b32_e32 v12, v12, v14, vcc
	v_cndmask_b32_e32 v3, v3, v13, vcc
	v_add_u32_e32 v13, 1, v3
	v_cmp_le_u32_e32 vcc, s16, v12
	v_cndmask_b32_e32 v12, v3, v13, vcc
	v_mov_b32_e32 v13, v2
.LBB5_11:                               ;   in Loop: Header=BB5_2 Depth=1
	s_or_b64 exec, exec, s[0:1]
	v_or_b32_e32 v3, s15, v13
	v_cmp_ne_u64_e32 vcc, 0, v[2:3]
                                        ; implicit-def: $vgpr14_vgpr15
	s_and_saveexec_b64 s[0:1], vcc
	s_xor_b64 s[28:29], exec, s[0:1]
	s_cbranch_execz .LBB5_13
; %bb.12:                               ;   in Loop: Header=BB5_2 Depth=1
	s_ashr_i32 s30, s15, 31
	s_add_u32 s0, s14, s30
	s_mov_b32 s31, s30
	s_addc_u32 s1, s15, s30
	s_xor_b64 s[34:35], s[0:1], s[30:31]
	v_cvt_f32_u32_e32 v3, s34
	v_cvt_f32_u32_e32 v14, s35
	s_sub_u32 s13, 0, s34
	s_subb_u32 s21, 0, s35
	v_mac_f32_e32 v3, 0x4f800000, v14
	v_rcp_f32_e32 v3, v3
	v_mul_f32_e32 v3, 0x5f7ffffc, v3
	v_mul_f32_e32 v14, 0x2f800000, v3
	v_trunc_f32_e32 v14, v14
	v_mac_f32_e32 v3, 0xcf800000, v14
	v_cvt_u32_f32_e32 v14, v14
	v_cvt_u32_f32_e32 v3, v3
	v_readfirstlane_b32 s31, v14
	v_readfirstlane_b32 s0, v3
	s_mul_i32 s1, s13, s31
	s_mul_hi_u32 s38, s13, s0
	s_mul_i32 s37, s21, s0
	s_add_i32 s1, s38, s1
	s_add_i32 s1, s1, s37
	s_mul_i32 s39, s13, s0
	s_mul_i32 s38, s0, s1
	s_mul_hi_u32 s40, s0, s39
	s_mul_hi_u32 s37, s0, s1
	s_add_u32 s38, s40, s38
	s_addc_u32 s37, 0, s37
	s_mul_hi_u32 s41, s31, s39
	s_mul_i32 s39, s31, s39
	s_add_u32 s38, s38, s39
	s_mul_hi_u32 s40, s31, s1
	s_addc_u32 s37, s37, s41
	s_addc_u32 s38, s40, 0
	s_mul_i32 s1, s31, s1
	s_add_u32 s1, s37, s1
	s_addc_u32 s37, 0, s38
	s_add_u32 s38, s0, s1
	s_cselect_b64 s[0:1], -1, 0
	s_cmp_lg_u64 s[0:1], 0
	s_addc_u32 s31, s31, s37
	s_mul_i32 s0, s13, s31
	s_mul_hi_u32 s1, s13, s38
	s_add_i32 s0, s1, s0
	s_mul_i32 s21, s21, s38
	s_add_i32 s0, s0, s21
	s_mul_i32 s13, s13, s38
	s_mul_hi_u32 s21, s31, s13
	s_mul_i32 s37, s31, s13
	s_mul_i32 s40, s38, s0
	s_mul_hi_u32 s13, s38, s13
	s_mul_hi_u32 s39, s38, s0
	s_add_u32 s13, s13, s40
	s_addc_u32 s39, 0, s39
	s_add_u32 s13, s13, s37
	s_mul_hi_u32 s1, s31, s0
	s_addc_u32 s13, s39, s21
	s_addc_u32 s1, s1, 0
	s_mul_i32 s0, s31, s0
	s_add_u32 s0, s13, s0
	s_addc_u32 s13, 0, s1
	s_add_u32 s21, s38, s0
	s_cselect_b64 s[0:1], -1, 0
	v_ashrrev_i32_e32 v3, 31, v13
	s_cmp_lg_u64 s[0:1], 0
	v_add_co_u32_e32 v14, vcc, v12, v3
	s_addc_u32 s13, s31, s13
	v_xor_b32_e32 v19, v14, v3
	v_addc_co_u32_e32 v15, vcc, v13, v3, vcc
	v_mad_u64_u32 v[13:14], s[0:1], v19, s13, 0
	v_mul_hi_u32 v17, v19, s21
	v_xor_b32_e32 v15, v15, v3
	v_xor_b32_e32 v3, s30, v3
	v_add_co_u32_e32 v20, vcc, v17, v13
	v_addc_co_u32_e32 v21, vcc, 0, v14, vcc
	v_mad_u64_u32 v[13:14], s[0:1], v15, s21, 0
	v_mad_u64_u32 v[17:18], s[0:1], v15, s13, 0
	v_add_co_u32_e32 v13, vcc, v20, v13
	v_addc_co_u32_e32 v13, vcc, v21, v14, vcc
	v_addc_co_u32_e32 v14, vcc, 0, v18, vcc
	v_add_co_u32_e32 v17, vcc, v13, v17
	v_addc_co_u32_e32 v13, vcc, 0, v14, vcc
	v_mul_lo_u32 v18, s35, v17
	v_mul_lo_u32 v20, s34, v13
	v_mad_u64_u32 v[13:14], s[0:1], s34, v17, 0
	v_add3_u32 v14, v14, v20, v18
	v_sub_u32_e32 v18, v15, v14
	v_mov_b32_e32 v20, s35
	v_sub_co_u32_e32 v13, vcc, v19, v13
	v_subb_co_u32_e64 v18, s[0:1], v18, v20, vcc
	v_subrev_co_u32_e64 v19, s[0:1], s34, v13
	v_subbrev_co_u32_e64 v18, s[0:1], 0, v18, s[0:1]
	v_cmp_le_u32_e64 s[0:1], s35, v18
	v_subb_co_u32_e32 v14, vcc, v15, v14, vcc
	v_cndmask_b32_e64 v20, 0, -1, s[0:1]
	v_cmp_le_u32_e64 s[0:1], s34, v19
	v_cmp_le_u32_e32 vcc, s35, v14
	v_cndmask_b32_e64 v19, 0, -1, s[0:1]
	v_cmp_eq_u32_e64 s[0:1], s35, v18
	v_cndmask_b32_e64 v15, 0, -1, vcc
	v_cmp_le_u32_e32 vcc, s34, v13
	v_cndmask_b32_e64 v18, v20, v19, s[0:1]
	v_cndmask_b32_e64 v13, 0, -1, vcc
	v_cmp_eq_u32_e32 vcc, s35, v14
	v_add_co_u32_e64 v19, s[0:1], 2, v17
	v_add_co_u32_e64 v20, s[0:1], 1, v17
	v_cndmask_b32_e32 v13, v15, v13, vcc
	v_cmp_ne_u32_e32 vcc, 0, v18
	v_cndmask_b32_e32 v14, v20, v19, vcc
	v_cmp_ne_u32_e32 vcc, 0, v13
	v_cndmask_b32_e32 v13, v17, v14, vcc
	v_xor_b32_e32 v13, v13, v3
	v_sub_co_u32_e32 v14, vcc, v13, v3
.LBB5_13:                               ;   in Loop: Header=BB5_2 Depth=1
	s_andn2_saveexec_b64 s[0:1], s[28:29]
	s_cbranch_execz .LBB5_15
; %bb.14:                               ;   in Loop: Header=BB5_2 Depth=1
	v_cvt_f32_u32_e32 v3, s14
	s_sub_i32 s13, 0, s14
	v_rcp_iflag_f32_e32 v3, v3
	v_mul_f32_e32 v3, 0x4f7ffffe, v3
	v_cvt_u32_f32_e32 v3, v3
	v_mul_lo_u32 v13, s13, v3
	v_mul_hi_u32 v13, v3, v13
	v_add_u32_e32 v3, v3, v13
	v_mul_hi_u32 v3, v12, v3
	v_mul_lo_u32 v13, v3, s14
	v_add_u32_e32 v14, 1, v3
	v_sub_u32_e32 v13, v12, v13
	v_subrev_u32_e32 v15, s14, v13
	v_cmp_le_u32_e32 vcc, s14, v13
	v_cndmask_b32_e32 v13, v13, v15, vcc
	v_cndmask_b32_e32 v3, v3, v14, vcc
	v_add_u32_e32 v14, 1, v3
	v_cmp_le_u32_e32 vcc, s14, v13
	v_cndmask_b32_e32 v14, v3, v14, vcc
.LBB5_15:                               ;   in Loop: Header=BB5_2 Depth=1
	s_or_b64 exec, exec, s[0:1]
	v_lshlrev_b64 v[10:11], 3, v[10:11]
	v_mov_b32_e32 v3, s11
	v_add_co_u32_e32 v10, vcc, s10, v10
	v_addc_co_u32_e32 v11, vcc, v3, v11, vcc
	global_load_dwordx2 v[10:11], v[10:11], off
	v_mul_lo_u32 v13, v14, s14
	v_ashrrev_i32_e32 v3, 31, v14
	v_mul_lo_u32 v15, v14, s15
	v_mul_lo_u32 v3, v3, s14
	v_sub_u32_e32 v12, v12, v13
	v_ashrrev_i32_e32 v13, 31, v12
	v_mad_u64_u32 v[12:13], s[0:1], v14, s14, v[12:13]
	v_add_co_u32_e32 v0, vcc, s33, v0
	v_add3_u32 v3, v3, v13, v15
	v_mul_lo_u32 v14, s3, v12
	v_mad_u64_u32 v[12:13], s[0:1], s2, v12, 0
	v_mul_lo_u32 v3, s2, v3
	v_addc_co_u32_e32 v1, vcc, 0, v1, vcc
	v_mov_b32_e32 v17, s36
	v_add3_u32 v13, v13, v3, v14
	v_cmp_le_i64_e32 vcc, s[8:9], v[0:1]
	v_add_co_u32_e64 v6, s[0:1], 0, v6
	v_lshlrev_b64 v[12:13], 3, v[12:13]
	v_addc_co_u32_e64 v7, s[0:1], v7, v17, s[0:1]
	v_lshlrev_b64 v[8:9], 3, v[8:9]
	s_and_b64 s[0:1], vcc, exec
	v_add_co_u32_e32 v4, vcc, v4, v12
	v_addc_co_u32_e32 v5, vcc, v5, v13, vcc
	s_andn2_b64 s[24:25], s[24:25], exec
	v_add_co_u32_e32 v8, vcc, v4, v8
	s_andn2_b64 s[22:23], s[22:23], exec
	v_addc_co_u32_e32 v9, vcc, v5, v9, vcc
	s_or_b64 s[24:25], s[24:25], s[0:1]
	s_waitcnt vmcnt(0)
	global_store_dwordx2 v[8:9], v[10:11], off
.LBB5_16:                               ;   in Loop: Header=BB5_2 Depth=1
	s_or_b64 exec, exec, s[26:27]
	s_and_b64 s[0:1], exec, s[24:25]
	s_or_b64 s[4:5], s[0:1], s[4:5]
	s_andn2_b64 s[0:1], s[6:7], exec
	s_and_b64 s[6:7], s[22:23], exec
	s_or_b64 s[6:7], s[0:1], s[6:7]
	s_andn2_b64 exec, exec, s[4:5]
	s_cbranch_execnz .LBB5_2
; %bb.17:
	s_or_b64 exec, exec, s[4:5]
	s_and_saveexec_b64 s[0:1], s[6:7]
	s_xor_b64 s[0:1], exec, s[0:1]
	s_cbranch_execnz .LBB5_19
.LBB5_18:
	s_endpgm
.LBB5_19:
	s_trap 2
	; divergent unreachable
	s_endpgm
	.section	.rodata,"a",@progbits
	.p2align	6, 0x0
	.amdhsa_kernel _ZN2at6native30max_unpooling2d_forward_kernelIdEEvlPKT_PKllllllPS2_
		.amdhsa_group_segment_fixed_size 0
		.amdhsa_private_segment_fixed_size 0
		.amdhsa_kernarg_size 328
		.amdhsa_user_sgpr_count 6
		.amdhsa_user_sgpr_private_segment_buffer 1
		.amdhsa_user_sgpr_dispatch_ptr 0
		.amdhsa_user_sgpr_queue_ptr 0
		.amdhsa_user_sgpr_kernarg_segment_ptr 1
		.amdhsa_user_sgpr_dispatch_id 0
		.amdhsa_user_sgpr_flat_scratch_init 0
		.amdhsa_user_sgpr_private_segment_size 0
		.amdhsa_uses_dynamic_stack 0
		.amdhsa_system_sgpr_private_segment_wavefront_offset 0
		.amdhsa_system_sgpr_workgroup_id_x 1
		.amdhsa_system_sgpr_workgroup_id_y 0
		.amdhsa_system_sgpr_workgroup_id_z 0
		.amdhsa_system_sgpr_workgroup_info 0
		.amdhsa_system_vgpr_workitem_id 0
		.amdhsa_next_free_vgpr 23
		.amdhsa_next_free_sgpr 42
		.amdhsa_reserve_vcc 1
		.amdhsa_reserve_flat_scratch 0
		.amdhsa_float_round_mode_32 0
		.amdhsa_float_round_mode_16_64 0
		.amdhsa_float_denorm_mode_32 3
		.amdhsa_float_denorm_mode_16_64 3
		.amdhsa_dx10_clamp 1
		.amdhsa_ieee_mode 1
		.amdhsa_fp16_overflow 0
		.amdhsa_exception_fp_ieee_invalid_op 0
		.amdhsa_exception_fp_denorm_src 0
		.amdhsa_exception_fp_ieee_div_zero 0
		.amdhsa_exception_fp_ieee_overflow 0
		.amdhsa_exception_fp_ieee_underflow 0
		.amdhsa_exception_fp_ieee_inexact 0
		.amdhsa_exception_int_div_zero 0
	.end_amdhsa_kernel
	.section	.text._ZN2at6native30max_unpooling2d_forward_kernelIdEEvlPKT_PKllllllPS2_,"axG",@progbits,_ZN2at6native30max_unpooling2d_forward_kernelIdEEvlPKT_PKllllllPS2_,comdat
.Lfunc_end5:
	.size	_ZN2at6native30max_unpooling2d_forward_kernelIdEEvlPKT_PKllllllPS2_, .Lfunc_end5-_ZN2at6native30max_unpooling2d_forward_kernelIdEEvlPKT_PKllllllPS2_
                                        ; -- End function
	.set _ZN2at6native30max_unpooling2d_forward_kernelIdEEvlPKT_PKllllllPS2_.num_vgpr, 23
	.set _ZN2at6native30max_unpooling2d_forward_kernelIdEEvlPKT_PKllllllPS2_.num_agpr, 0
	.set _ZN2at6native30max_unpooling2d_forward_kernelIdEEvlPKT_PKllllllPS2_.numbered_sgpr, 42
	.set _ZN2at6native30max_unpooling2d_forward_kernelIdEEvlPKT_PKllllllPS2_.num_named_barrier, 0
	.set _ZN2at6native30max_unpooling2d_forward_kernelIdEEvlPKT_PKllllllPS2_.private_seg_size, 0
	.set _ZN2at6native30max_unpooling2d_forward_kernelIdEEvlPKT_PKllllllPS2_.uses_vcc, 1
	.set _ZN2at6native30max_unpooling2d_forward_kernelIdEEvlPKT_PKllllllPS2_.uses_flat_scratch, 0
	.set _ZN2at6native30max_unpooling2d_forward_kernelIdEEvlPKT_PKllllllPS2_.has_dyn_sized_stack, 0
	.set _ZN2at6native30max_unpooling2d_forward_kernelIdEEvlPKT_PKllllllPS2_.has_recursion, 0
	.set _ZN2at6native30max_unpooling2d_forward_kernelIdEEvlPKT_PKllllllPS2_.has_indirect_call, 0
	.section	.AMDGPU.csdata,"",@progbits
; Kernel info:
; codeLenInByte = 2648
; TotalNumSgprs: 46
; NumVgprs: 23
; ScratchSize: 0
; MemoryBound: 0
; FloatMode: 240
; IeeeMode: 1
; LDSByteSize: 0 bytes/workgroup (compile time only)
; SGPRBlocks: 5
; VGPRBlocks: 5
; NumSGPRsForWavesPerEU: 46
; NumVGPRsForWavesPerEU: 23
; Occupancy: 10
; WaveLimiterHint : 1
; COMPUTE_PGM_RSRC2:SCRATCH_EN: 0
; COMPUTE_PGM_RSRC2:USER_SGPR: 6
; COMPUTE_PGM_RSRC2:TRAP_HANDLER: 0
; COMPUTE_PGM_RSRC2:TGID_X_EN: 1
; COMPUTE_PGM_RSRC2:TGID_Y_EN: 0
; COMPUTE_PGM_RSRC2:TGID_Z_EN: 0
; COMPUTE_PGM_RSRC2:TIDIG_COMP_CNT: 0
	.section	.text._ZN2at6native30max_unpooling2d_forward_kernelIfEEvlPKT_PKllllllPS2_,"axG",@progbits,_ZN2at6native30max_unpooling2d_forward_kernelIfEEvlPKT_PKllllllPS2_,comdat
	.protected	_ZN2at6native30max_unpooling2d_forward_kernelIfEEvlPKT_PKllllllPS2_ ; -- Begin function _ZN2at6native30max_unpooling2d_forward_kernelIfEEvlPKT_PKllllllPS2_
	.globl	_ZN2at6native30max_unpooling2d_forward_kernelIfEEvlPKT_PKllllllPS2_
	.p2align	8
	.type	_ZN2at6native30max_unpooling2d_forward_kernelIfEEvlPKT_PKllllllPS2_,@function
_ZN2at6native30max_unpooling2d_forward_kernelIfEEvlPKT_PKllllllPS2_: ; @_ZN2at6native30max_unpooling2d_forward_kernelIfEEvlPKT_PKllllllPS2_
; %bb.0:
	s_load_dword s2, s[4:5], 0x54
	s_load_dwordx16 s[8:23], s[4:5], 0x0
	s_add_u32 s0, s4, 0x48
	v_mov_b32_e32 v2, 0
	s_addc_u32 s1, s5, 0
	s_waitcnt lgkmcnt(0)
	s_and_b32 s7, s2, 0xffff
	v_mov_b32_e32 v1, v2
	v_mov_b32_e32 v3, s6
	v_mad_u64_u32 v[0:1], s[2:3], s7, v3, v[0:1]
	v_cmp_gt_i64_e32 vcc, s[8:9], v[0:1]
	s_and_saveexec_b64 s[2:3], vcc
	s_cbranch_execz .LBB6_18
; %bb.1:
	s_load_dwordx2 s[24:25], s[4:5], 0x40
	s_mul_i32 s2, s22, s21
	s_load_dword s0, s[0:1], 0x0
	s_mul_hi_u32 s3, s22, s20
	v_mov_b32_e32 v3, v0
	s_add_i32 s1, s3, s2
	s_mul_i32 s2, s23, s20
	s_waitcnt lgkmcnt(0)
	s_mul_i32 s33, s0, s7
	v_mov_b32_e32 v4, s24
	v_mov_b32_e32 v7, v3
	s_add_i32 s3, s1, s2
	s_mul_i32 s2, s22, s20
	s_mov_b32 s36, s33
	s_mov_b64 s[4:5], 0
	v_mov_b32_e32 v5, s25
	v_mov_b32_e32 v16, s13
	s_ashr_i32 s20, s19, 31
	v_mov_b32_e32 v6, v2
                                        ; implicit-def: $sgpr6_sgpr7
                                        ; implicit-def: $sgpr24_sgpr25
                                        ; implicit-def: $sgpr22_sgpr23
.LBB6_2:                                ; =>This Inner Loop Header: Depth=1
	v_ashrrev_i64 v[8:9], 29, v[6:7]
	s_or_b64 s[22:23], s[22:23], exec
	v_add_co_u32_e32 v8, vcc, s12, v8
	v_addc_co_u32_e32 v9, vcc, v16, v9, vcc
	global_load_dwordx2 v[8:9], v[8:9], off
	s_or_b64 s[24:25], s[24:25], exec
	s_waitcnt vmcnt(0)
	v_ashrrev_i32_e32 v9, 31, v8
	v_cmp_gt_i64_e32 vcc, s[2:3], v[8:9]
	v_cmp_lt_i32_e64 s[0:1], -1, v8
	s_and_b64 s[0:1], s[0:1], vcc
	s_and_saveexec_b64 s[26:27], s[0:1]
	s_cbranch_execz .LBB6_16
; %bb.3:                                ;   in Loop: Header=BB6_2 Depth=1
	v_ashrrev_i32_e32 v11, 31, v7
	v_or_b32_e32 v3, s19, v11
	v_cmp_ne_u64_e32 vcc, 0, v[2:3]
	v_mov_b32_e32 v10, v7
                                        ; implicit-def: $vgpr14_vgpr15
	s_and_saveexec_b64 s[0:1], vcc
	s_xor_b64 s[28:29], exec, s[0:1]
	s_cbranch_execz .LBB6_5
; %bb.4:                                ;   in Loop: Header=BB6_2 Depth=1
	s_add_u32 s0, s18, s20
	s_mov_b32 s21, s20
	s_addc_u32 s1, s19, s20
	s_xor_b64 s[30:31], s[0:1], s[20:21]
	v_cvt_f32_u32_e32 v3, s30
	v_cvt_f32_u32_e32 v12, s31
	s_sub_u32 s13, 0, s30
	s_subb_u32 s21, 0, s31
	v_mac_f32_e32 v3, 0x4f800000, v12
	v_rcp_f32_e32 v3, v3
	v_mul_f32_e32 v3, 0x5f7ffffc, v3
	v_mul_f32_e32 v12, 0x2f800000, v3
	v_trunc_f32_e32 v12, v12
	v_mac_f32_e32 v3, 0xcf800000, v12
	v_cvt_u32_f32_e32 v12, v12
	v_cvt_u32_f32_e32 v3, v3
	v_readfirstlane_b32 s34, v12
	v_readfirstlane_b32 s0, v3
	s_mul_i32 s1, s13, s34
	s_mul_hi_u32 s37, s13, s0
	s_mul_i32 s35, s21, s0
	s_add_i32 s1, s37, s1
	s_add_i32 s1, s1, s35
	s_mul_i32 s38, s13, s0
	s_mul_i32 s37, s0, s1
	s_mul_hi_u32 s39, s0, s38
	s_mul_hi_u32 s35, s0, s1
	s_add_u32 s37, s39, s37
	s_addc_u32 s35, 0, s35
	s_mul_hi_u32 s40, s34, s38
	s_mul_i32 s38, s34, s38
	s_add_u32 s37, s37, s38
	s_mul_hi_u32 s39, s34, s1
	s_addc_u32 s35, s35, s40
	s_addc_u32 s37, s39, 0
	s_mul_i32 s1, s34, s1
	s_add_u32 s1, s35, s1
	s_addc_u32 s35, 0, s37
	s_add_u32 s37, s0, s1
	s_cselect_b64 s[0:1], -1, 0
	s_cmp_lg_u64 s[0:1], 0
	s_addc_u32 s34, s34, s35
	s_mul_i32 s0, s13, s34
	s_mul_hi_u32 s1, s13, s37
	s_add_i32 s0, s1, s0
	s_mul_i32 s21, s21, s37
	s_add_i32 s0, s0, s21
	s_mul_i32 s13, s13, s37
	s_mul_hi_u32 s21, s34, s13
	s_mul_i32 s35, s34, s13
	s_mul_i32 s39, s37, s0
	s_mul_hi_u32 s13, s37, s13
	s_mul_hi_u32 s38, s37, s0
	s_add_u32 s13, s13, s39
	s_addc_u32 s38, 0, s38
	s_add_u32 s13, s13, s35
	s_mul_hi_u32 s1, s34, s0
	s_addc_u32 s13, s38, s21
	s_addc_u32 s1, s1, 0
	s_mul_i32 s0, s34, s0
	s_add_u32 s0, s13, s0
	s_addc_u32 s13, 0, s1
	s_add_u32 s21, s37, s0
	s_cselect_b64 s[0:1], -1, 0
	v_ashrrev_i32_e32 v3, 31, v11
	s_cmp_lg_u64 s[0:1], 0
	v_add_co_u32_e32 v12, vcc, v10, v3
	s_addc_u32 s13, s34, s13
	v_xor_b32_e32 v17, v12, v3
	v_mad_u64_u32 v[12:13], s[0:1], v17, s13, 0
	v_mul_hi_u32 v15, v17, s21
	v_addc_co_u32_e32 v14, vcc, v11, v3, vcc
	v_xor_b32_e32 v18, v14, v3
	v_add_co_u32_e32 v19, vcc, v15, v12
	v_addc_co_u32_e32 v20, vcc, 0, v13, vcc
	v_mad_u64_u32 v[12:13], s[0:1], v18, s21, 0
	v_mad_u64_u32 v[14:15], s[0:1], v18, s13, 0
	v_add_co_u32_e32 v12, vcc, v19, v12
	v_addc_co_u32_e32 v12, vcc, v20, v13, vcc
	v_addc_co_u32_e32 v13, vcc, 0, v15, vcc
	v_add_co_u32_e32 v14, vcc, v12, v14
	v_addc_co_u32_e32 v15, vcc, 0, v13, vcc
	v_mul_lo_u32 v19, s31, v14
	v_mul_lo_u32 v20, s30, v15
	v_mad_u64_u32 v[12:13], s[0:1], s30, v14, 0
	v_xor_b32_e32 v3, s20, v3
	v_add3_u32 v13, v13, v20, v19
	v_sub_u32_e32 v19, v18, v13
	v_mov_b32_e32 v20, s31
	v_sub_co_u32_e32 v12, vcc, v17, v12
	v_subb_co_u32_e64 v17, s[0:1], v19, v20, vcc
	v_subrev_co_u32_e64 v19, s[0:1], s30, v12
	v_subbrev_co_u32_e64 v17, s[0:1], 0, v17, s[0:1]
	v_cmp_le_u32_e64 s[0:1], s31, v17
	v_cndmask_b32_e64 v20, 0, -1, s[0:1]
	v_cmp_le_u32_e64 s[0:1], s30, v19
	v_cndmask_b32_e64 v19, 0, -1, s[0:1]
	v_cmp_eq_u32_e64 s[0:1], s31, v17
	v_cndmask_b32_e64 v17, v20, v19, s[0:1]
	v_add_co_u32_e64 v19, s[0:1], 2, v14
	v_subb_co_u32_e32 v13, vcc, v18, v13, vcc
	v_addc_co_u32_e64 v20, s[0:1], 0, v15, s[0:1]
	v_cmp_le_u32_e32 vcc, s31, v13
	v_add_co_u32_e64 v21, s[0:1], 1, v14
	v_cndmask_b32_e64 v18, 0, -1, vcc
	v_cmp_le_u32_e32 vcc, s30, v12
	v_addc_co_u32_e64 v22, s[0:1], 0, v15, s[0:1]
	v_cndmask_b32_e64 v12, 0, -1, vcc
	v_cmp_eq_u32_e32 vcc, s31, v13
	v_cmp_ne_u32_e64 s[0:1], 0, v17
	v_cndmask_b32_e32 v12, v18, v12, vcc
	v_cmp_ne_u32_e32 vcc, 0, v12
	v_cndmask_b32_e64 v13, v21, v19, s[0:1]
	v_cndmask_b32_e64 v17, v22, v20, s[0:1]
	v_cndmask_b32_e32 v13, v14, v13, vcc
	v_cndmask_b32_e32 v12, v15, v17, vcc
	v_xor_b32_e32 v13, v13, v3
	v_xor_b32_e32 v12, v12, v3
	v_sub_co_u32_e32 v14, vcc, v13, v3
	v_subb_co_u32_e32 v15, vcc, v12, v3, vcc
.LBB6_5:                                ;   in Loop: Header=BB6_2 Depth=1
	s_andn2_saveexec_b64 s[0:1], s[28:29]
	s_cbranch_execz .LBB6_7
; %bb.6:                                ;   in Loop: Header=BB6_2 Depth=1
	v_cvt_f32_u32_e32 v3, s18
	s_sub_i32 s13, 0, s18
	v_mov_b32_e32 v15, v2
	v_rcp_iflag_f32_e32 v3, v3
	v_mul_f32_e32 v3, 0x4f7ffffe, v3
	v_cvt_u32_f32_e32 v3, v3
	v_mul_lo_u32 v12, s13, v3
	v_mul_hi_u32 v12, v3, v12
	v_add_u32_e32 v3, v3, v12
	v_mul_hi_u32 v3, v7, v3
	v_mul_lo_u32 v12, v3, s18
	v_add_u32_e32 v13, 1, v3
	v_sub_u32_e32 v12, v7, v12
	v_subrev_u32_e32 v14, s18, v12
	v_cmp_le_u32_e32 vcc, s18, v12
	v_cndmask_b32_e32 v12, v12, v14, vcc
	v_cndmask_b32_e32 v3, v3, v13, vcc
	v_add_u32_e32 v13, 1, v3
	v_cmp_le_u32_e32 vcc, s18, v12
	v_cndmask_b32_e32 v14, v3, v13, vcc
.LBB6_7:                                ;   in Loop: Header=BB6_2 Depth=1
	s_or_b64 exec, exec, s[0:1]
	v_or_b32_e32 v3, s17, v15
	v_cmp_ne_u64_e32 vcc, 0, v[2:3]
                                        ; implicit-def: $vgpr12_vgpr13
	s_and_saveexec_b64 s[0:1], vcc
	s_xor_b64 s[28:29], exec, s[0:1]
	s_cbranch_execz .LBB6_9
; %bb.8:                                ;   in Loop: Header=BB6_2 Depth=1
	s_ashr_i32 s30, s17, 31
	s_add_u32 s0, s16, s30
	s_mov_b32 s31, s30
	s_addc_u32 s1, s17, s30
	s_xor_b64 s[34:35], s[0:1], s[30:31]
	v_cvt_f32_u32_e32 v3, s34
	v_cvt_f32_u32_e32 v12, s35
	s_sub_u32 s13, 0, s34
	s_subb_u32 s21, 0, s35
	v_mac_f32_e32 v3, 0x4f800000, v12
	v_rcp_f32_e32 v3, v3
	v_mul_f32_e32 v3, 0x5f7ffffc, v3
	v_mul_f32_e32 v12, 0x2f800000, v3
	v_trunc_f32_e32 v12, v12
	v_mac_f32_e32 v3, 0xcf800000, v12
	v_cvt_u32_f32_e32 v12, v12
	v_cvt_u32_f32_e32 v3, v3
	v_readfirstlane_b32 s31, v12
	v_readfirstlane_b32 s0, v3
	s_mul_i32 s1, s13, s31
	s_mul_hi_u32 s38, s13, s0
	s_mul_i32 s37, s21, s0
	s_add_i32 s1, s38, s1
	s_add_i32 s1, s1, s37
	s_mul_i32 s39, s13, s0
	s_mul_i32 s38, s0, s1
	s_mul_hi_u32 s40, s0, s39
	s_mul_hi_u32 s37, s0, s1
	s_add_u32 s38, s40, s38
	s_addc_u32 s37, 0, s37
	s_mul_hi_u32 s41, s31, s39
	s_mul_i32 s39, s31, s39
	s_add_u32 s38, s38, s39
	s_mul_hi_u32 s40, s31, s1
	s_addc_u32 s37, s37, s41
	s_addc_u32 s38, s40, 0
	s_mul_i32 s1, s31, s1
	s_add_u32 s1, s37, s1
	s_addc_u32 s37, 0, s38
	s_add_u32 s38, s0, s1
	s_cselect_b64 s[0:1], -1, 0
	s_cmp_lg_u64 s[0:1], 0
	s_addc_u32 s31, s31, s37
	s_mul_i32 s0, s13, s31
	s_mul_hi_u32 s1, s13, s38
	s_add_i32 s0, s1, s0
	s_mul_i32 s21, s21, s38
	s_add_i32 s0, s0, s21
	s_mul_i32 s13, s13, s38
	s_mul_hi_u32 s21, s31, s13
	s_mul_i32 s37, s31, s13
	s_mul_i32 s40, s38, s0
	s_mul_hi_u32 s13, s38, s13
	s_mul_hi_u32 s39, s38, s0
	s_add_u32 s13, s13, s40
	s_addc_u32 s39, 0, s39
	s_add_u32 s13, s13, s37
	s_mul_hi_u32 s1, s31, s0
	s_addc_u32 s13, s39, s21
	s_addc_u32 s1, s1, 0
	s_mul_i32 s0, s31, s0
	s_add_u32 s0, s13, s0
	s_addc_u32 s13, 0, s1
	s_add_u32 s21, s38, s0
	s_cselect_b64 s[0:1], -1, 0
	v_ashrrev_i32_e32 v3, 31, v15
	s_cmp_lg_u64 s[0:1], 0
	v_add_co_u32_e32 v12, vcc, v14, v3
	s_addc_u32 s13, s31, s13
	v_xor_b32_e32 v17, v12, v3
	v_addc_co_u32_e32 v14, vcc, v15, v3, vcc
	v_mad_u64_u32 v[12:13], s[0:1], v17, s13, 0
	v_mul_hi_u32 v15, v17, s21
	v_xor_b32_e32 v18, v14, v3
	v_xor_b32_e32 v3, s30, v3
	v_add_co_u32_e32 v19, vcc, v15, v12
	v_addc_co_u32_e32 v20, vcc, 0, v13, vcc
	v_mad_u64_u32 v[12:13], s[0:1], v18, s21, 0
	v_mad_u64_u32 v[14:15], s[0:1], v18, s13, 0
	v_add_co_u32_e32 v12, vcc, v19, v12
	v_addc_co_u32_e32 v12, vcc, v20, v13, vcc
	v_addc_co_u32_e32 v13, vcc, 0, v15, vcc
	v_add_co_u32_e32 v14, vcc, v12, v14
	v_addc_co_u32_e32 v15, vcc, 0, v13, vcc
	v_mul_lo_u32 v19, s35, v14
	v_mul_lo_u32 v20, s34, v15
	v_mad_u64_u32 v[12:13], s[0:1], s34, v14, 0
	v_add3_u32 v13, v13, v20, v19
	v_sub_u32_e32 v19, v18, v13
	v_mov_b32_e32 v20, s35
	v_sub_co_u32_e32 v12, vcc, v17, v12
	v_subb_co_u32_e64 v17, s[0:1], v19, v20, vcc
	v_subrev_co_u32_e64 v19, s[0:1], s34, v12
	v_subbrev_co_u32_e64 v17, s[0:1], 0, v17, s[0:1]
	v_cmp_le_u32_e64 s[0:1], s35, v17
	v_cndmask_b32_e64 v20, 0, -1, s[0:1]
	v_cmp_le_u32_e64 s[0:1], s34, v19
	v_cndmask_b32_e64 v19, 0, -1, s[0:1]
	v_cmp_eq_u32_e64 s[0:1], s35, v17
	v_cndmask_b32_e64 v17, v20, v19, s[0:1]
	v_add_co_u32_e64 v19, s[0:1], 2, v14
	v_subb_co_u32_e32 v13, vcc, v18, v13, vcc
	v_addc_co_u32_e64 v20, s[0:1], 0, v15, s[0:1]
	v_cmp_le_u32_e32 vcc, s35, v13
	v_add_co_u32_e64 v21, s[0:1], 1, v14
	v_cndmask_b32_e64 v18, 0, -1, vcc
	v_cmp_le_u32_e32 vcc, s34, v12
	v_addc_co_u32_e64 v22, s[0:1], 0, v15, s[0:1]
	v_cndmask_b32_e64 v12, 0, -1, vcc
	v_cmp_eq_u32_e32 vcc, s35, v13
	v_cmp_ne_u32_e64 s[0:1], 0, v17
	v_cndmask_b32_e32 v12, v18, v12, vcc
	v_cndmask_b32_e64 v17, v22, v20, s[0:1]
	v_cmp_ne_u32_e32 vcc, 0, v12
	v_cndmask_b32_e64 v13, v21, v19, s[0:1]
	v_cndmask_b32_e32 v12, v15, v17, vcc
	v_cndmask_b32_e32 v13, v14, v13, vcc
	v_xor_b32_e32 v14, v12, v3
	v_xor_b32_e32 v12, v13, v3
	v_sub_co_u32_e32 v12, vcc, v12, v3
	v_subb_co_u32_e32 v13, vcc, v14, v3, vcc
                                        ; implicit-def: $vgpr14_vgpr15
.LBB6_9:                                ;   in Loop: Header=BB6_2 Depth=1
	s_andn2_saveexec_b64 s[0:1], s[28:29]
	s_cbranch_execz .LBB6_11
; %bb.10:                               ;   in Loop: Header=BB6_2 Depth=1
	v_cvt_f32_u32_e32 v3, s16
	s_sub_i32 s13, 0, s16
	v_rcp_iflag_f32_e32 v3, v3
	v_mul_f32_e32 v3, 0x4f7ffffe, v3
	v_cvt_u32_f32_e32 v3, v3
	v_mul_lo_u32 v12, s13, v3
	v_mul_hi_u32 v12, v3, v12
	v_add_u32_e32 v3, v3, v12
	v_mul_hi_u32 v3, v14, v3
	v_mul_lo_u32 v12, v3, s16
	v_add_u32_e32 v13, 1, v3
	v_sub_u32_e32 v12, v14, v12
	v_subrev_u32_e32 v14, s16, v12
	v_cmp_le_u32_e32 vcc, s16, v12
	v_cndmask_b32_e32 v12, v12, v14, vcc
	v_cndmask_b32_e32 v3, v3, v13, vcc
	v_add_u32_e32 v13, 1, v3
	v_cmp_le_u32_e32 vcc, s16, v12
	v_cndmask_b32_e32 v12, v3, v13, vcc
	v_mov_b32_e32 v13, v2
.LBB6_11:                               ;   in Loop: Header=BB6_2 Depth=1
	s_or_b64 exec, exec, s[0:1]
	v_or_b32_e32 v3, s15, v13
	v_cmp_ne_u64_e32 vcc, 0, v[2:3]
                                        ; implicit-def: $vgpr14_vgpr15
	s_and_saveexec_b64 s[0:1], vcc
	s_xor_b64 s[28:29], exec, s[0:1]
	s_cbranch_execz .LBB6_13
; %bb.12:                               ;   in Loop: Header=BB6_2 Depth=1
	s_ashr_i32 s30, s15, 31
	s_add_u32 s0, s14, s30
	s_mov_b32 s31, s30
	s_addc_u32 s1, s15, s30
	s_xor_b64 s[34:35], s[0:1], s[30:31]
	v_cvt_f32_u32_e32 v3, s34
	v_cvt_f32_u32_e32 v14, s35
	s_sub_u32 s13, 0, s34
	s_subb_u32 s21, 0, s35
	v_mac_f32_e32 v3, 0x4f800000, v14
	v_rcp_f32_e32 v3, v3
	v_mul_f32_e32 v3, 0x5f7ffffc, v3
	v_mul_f32_e32 v14, 0x2f800000, v3
	v_trunc_f32_e32 v14, v14
	v_mac_f32_e32 v3, 0xcf800000, v14
	v_cvt_u32_f32_e32 v14, v14
	v_cvt_u32_f32_e32 v3, v3
	v_readfirstlane_b32 s31, v14
	v_readfirstlane_b32 s0, v3
	s_mul_i32 s1, s13, s31
	s_mul_hi_u32 s38, s13, s0
	s_mul_i32 s37, s21, s0
	s_add_i32 s1, s38, s1
	s_add_i32 s1, s1, s37
	s_mul_i32 s39, s13, s0
	s_mul_i32 s38, s0, s1
	s_mul_hi_u32 s40, s0, s39
	s_mul_hi_u32 s37, s0, s1
	s_add_u32 s38, s40, s38
	s_addc_u32 s37, 0, s37
	s_mul_hi_u32 s41, s31, s39
	s_mul_i32 s39, s31, s39
	s_add_u32 s38, s38, s39
	s_mul_hi_u32 s40, s31, s1
	s_addc_u32 s37, s37, s41
	s_addc_u32 s38, s40, 0
	s_mul_i32 s1, s31, s1
	s_add_u32 s1, s37, s1
	s_addc_u32 s37, 0, s38
	s_add_u32 s38, s0, s1
	s_cselect_b64 s[0:1], -1, 0
	s_cmp_lg_u64 s[0:1], 0
	s_addc_u32 s31, s31, s37
	s_mul_i32 s0, s13, s31
	s_mul_hi_u32 s1, s13, s38
	s_add_i32 s0, s1, s0
	s_mul_i32 s21, s21, s38
	s_add_i32 s0, s0, s21
	s_mul_i32 s13, s13, s38
	s_mul_hi_u32 s21, s31, s13
	s_mul_i32 s37, s31, s13
	s_mul_i32 s40, s38, s0
	s_mul_hi_u32 s13, s38, s13
	s_mul_hi_u32 s39, s38, s0
	s_add_u32 s13, s13, s40
	s_addc_u32 s39, 0, s39
	s_add_u32 s13, s13, s37
	s_mul_hi_u32 s1, s31, s0
	s_addc_u32 s13, s39, s21
	s_addc_u32 s1, s1, 0
	s_mul_i32 s0, s31, s0
	s_add_u32 s0, s13, s0
	s_addc_u32 s13, 0, s1
	s_add_u32 s21, s38, s0
	s_cselect_b64 s[0:1], -1, 0
	v_ashrrev_i32_e32 v3, 31, v13
	s_cmp_lg_u64 s[0:1], 0
	v_add_co_u32_e32 v14, vcc, v12, v3
	s_addc_u32 s13, s31, s13
	v_xor_b32_e32 v19, v14, v3
	v_addc_co_u32_e32 v15, vcc, v13, v3, vcc
	v_mad_u64_u32 v[13:14], s[0:1], v19, s13, 0
	v_mul_hi_u32 v17, v19, s21
	v_xor_b32_e32 v15, v15, v3
	v_xor_b32_e32 v3, s30, v3
	v_add_co_u32_e32 v20, vcc, v17, v13
	v_addc_co_u32_e32 v21, vcc, 0, v14, vcc
	v_mad_u64_u32 v[13:14], s[0:1], v15, s21, 0
	v_mad_u64_u32 v[17:18], s[0:1], v15, s13, 0
	v_add_co_u32_e32 v13, vcc, v20, v13
	v_addc_co_u32_e32 v13, vcc, v21, v14, vcc
	v_addc_co_u32_e32 v14, vcc, 0, v18, vcc
	v_add_co_u32_e32 v17, vcc, v13, v17
	v_addc_co_u32_e32 v13, vcc, 0, v14, vcc
	v_mul_lo_u32 v18, s35, v17
	v_mul_lo_u32 v20, s34, v13
	v_mad_u64_u32 v[13:14], s[0:1], s34, v17, 0
	v_add3_u32 v14, v14, v20, v18
	v_sub_u32_e32 v18, v15, v14
	v_mov_b32_e32 v20, s35
	v_sub_co_u32_e32 v13, vcc, v19, v13
	v_subb_co_u32_e64 v18, s[0:1], v18, v20, vcc
	v_subrev_co_u32_e64 v19, s[0:1], s34, v13
	v_subbrev_co_u32_e64 v18, s[0:1], 0, v18, s[0:1]
	v_cmp_le_u32_e64 s[0:1], s35, v18
	v_subb_co_u32_e32 v14, vcc, v15, v14, vcc
	v_cndmask_b32_e64 v20, 0, -1, s[0:1]
	v_cmp_le_u32_e64 s[0:1], s34, v19
	v_cmp_le_u32_e32 vcc, s35, v14
	v_cndmask_b32_e64 v19, 0, -1, s[0:1]
	v_cmp_eq_u32_e64 s[0:1], s35, v18
	v_cndmask_b32_e64 v15, 0, -1, vcc
	v_cmp_le_u32_e32 vcc, s34, v13
	v_cndmask_b32_e64 v18, v20, v19, s[0:1]
	v_cndmask_b32_e64 v13, 0, -1, vcc
	v_cmp_eq_u32_e32 vcc, s35, v14
	v_add_co_u32_e64 v19, s[0:1], 2, v17
	v_add_co_u32_e64 v20, s[0:1], 1, v17
	v_cndmask_b32_e32 v13, v15, v13, vcc
	v_cmp_ne_u32_e32 vcc, 0, v18
	v_cndmask_b32_e32 v14, v20, v19, vcc
	v_cmp_ne_u32_e32 vcc, 0, v13
	v_cndmask_b32_e32 v13, v17, v14, vcc
	v_xor_b32_e32 v13, v13, v3
	v_sub_co_u32_e32 v14, vcc, v13, v3
.LBB6_13:                               ;   in Loop: Header=BB6_2 Depth=1
	s_andn2_saveexec_b64 s[0:1], s[28:29]
	s_cbranch_execz .LBB6_15
; %bb.14:                               ;   in Loop: Header=BB6_2 Depth=1
	v_cvt_f32_u32_e32 v3, s14
	s_sub_i32 s13, 0, s14
	v_rcp_iflag_f32_e32 v3, v3
	v_mul_f32_e32 v3, 0x4f7ffffe, v3
	v_cvt_u32_f32_e32 v3, v3
	v_mul_lo_u32 v13, s13, v3
	v_mul_hi_u32 v13, v3, v13
	v_add_u32_e32 v3, v3, v13
	v_mul_hi_u32 v3, v12, v3
	v_mul_lo_u32 v13, v3, s14
	v_add_u32_e32 v14, 1, v3
	v_sub_u32_e32 v13, v12, v13
	v_subrev_u32_e32 v15, s14, v13
	v_cmp_le_u32_e32 vcc, s14, v13
	v_cndmask_b32_e32 v13, v13, v15, vcc
	v_cndmask_b32_e32 v3, v3, v14, vcc
	v_add_u32_e32 v14, 1, v3
	v_cmp_le_u32_e32 vcc, s14, v13
	v_cndmask_b32_e32 v14, v3, v14, vcc
.LBB6_15:                               ;   in Loop: Header=BB6_2 Depth=1
	s_or_b64 exec, exec, s[0:1]
	v_lshlrev_b64 v[10:11], 2, v[10:11]
	v_mov_b32_e32 v3, s11
	v_add_co_u32_e32 v10, vcc, s10, v10
	v_addc_co_u32_e32 v11, vcc, v3, v11, vcc
	global_load_dword v3, v[10:11], off
	v_mul_lo_u32 v11, v14, s14
	v_ashrrev_i32_e32 v10, 31, v14
	v_mul_lo_u32 v17, v10, s14
	v_mul_lo_u32 v13, v14, s15
	v_sub_u32_e32 v10, v12, v11
	v_ashrrev_i32_e32 v11, 31, v10
	v_mad_u64_u32 v[10:11], s[0:1], v14, s14, v[10:11]
	v_add_co_u32_e32 v0, vcc, s33, v0
	v_add3_u32 v12, v17, v11, v13
	v_mul_lo_u32 v13, s3, v10
	v_mad_u64_u32 v[10:11], s[0:1], s2, v10, 0
	v_mul_lo_u32 v12, s2, v12
	v_addc_co_u32_e32 v1, vcc, 0, v1, vcc
	v_mov_b32_e32 v15, s36
	v_add3_u32 v11, v11, v12, v13
	v_cmp_le_i64_e32 vcc, s[8:9], v[0:1]
	v_add_co_u32_e64 v6, s[0:1], 0, v6
	v_lshlrev_b64 v[10:11], 2, v[10:11]
	v_addc_co_u32_e64 v7, s[0:1], v7, v15, s[0:1]
	v_lshlrev_b64 v[8:9], 2, v[8:9]
	s_and_b64 s[0:1], vcc, exec
	v_add_co_u32_e32 v4, vcc, v4, v10
	v_addc_co_u32_e32 v5, vcc, v5, v11, vcc
	s_andn2_b64 s[24:25], s[24:25], exec
	v_add_co_u32_e32 v8, vcc, v4, v8
	s_andn2_b64 s[22:23], s[22:23], exec
	v_addc_co_u32_e32 v9, vcc, v5, v9, vcc
	s_or_b64 s[24:25], s[24:25], s[0:1]
	s_waitcnt vmcnt(0)
	global_store_dword v[8:9], v3, off
.LBB6_16:                               ;   in Loop: Header=BB6_2 Depth=1
	s_or_b64 exec, exec, s[26:27]
	s_and_b64 s[0:1], exec, s[24:25]
	s_or_b64 s[4:5], s[0:1], s[4:5]
	s_andn2_b64 s[0:1], s[6:7], exec
	s_and_b64 s[6:7], s[22:23], exec
	s_or_b64 s[6:7], s[0:1], s[6:7]
	s_andn2_b64 exec, exec, s[4:5]
	s_cbranch_execnz .LBB6_2
; %bb.17:
	s_or_b64 exec, exec, s[4:5]
	s_and_saveexec_b64 s[0:1], s[6:7]
	s_xor_b64 s[0:1], exec, s[0:1]
	s_cbranch_execnz .LBB6_19
.LBB6_18:
	s_endpgm
.LBB6_19:
	s_trap 2
	; divergent unreachable
	s_endpgm
	.section	.rodata,"a",@progbits
	.p2align	6, 0x0
	.amdhsa_kernel _ZN2at6native30max_unpooling2d_forward_kernelIfEEvlPKT_PKllllllPS2_
		.amdhsa_group_segment_fixed_size 0
		.amdhsa_private_segment_fixed_size 0
		.amdhsa_kernarg_size 328
		.amdhsa_user_sgpr_count 6
		.amdhsa_user_sgpr_private_segment_buffer 1
		.amdhsa_user_sgpr_dispatch_ptr 0
		.amdhsa_user_sgpr_queue_ptr 0
		.amdhsa_user_sgpr_kernarg_segment_ptr 1
		.amdhsa_user_sgpr_dispatch_id 0
		.amdhsa_user_sgpr_flat_scratch_init 0
		.amdhsa_user_sgpr_private_segment_size 0
		.amdhsa_uses_dynamic_stack 0
		.amdhsa_system_sgpr_private_segment_wavefront_offset 0
		.amdhsa_system_sgpr_workgroup_id_x 1
		.amdhsa_system_sgpr_workgroup_id_y 0
		.amdhsa_system_sgpr_workgroup_id_z 0
		.amdhsa_system_sgpr_workgroup_info 0
		.amdhsa_system_vgpr_workitem_id 0
		.amdhsa_next_free_vgpr 23
		.amdhsa_next_free_sgpr 42
		.amdhsa_reserve_vcc 1
		.amdhsa_reserve_flat_scratch 0
		.amdhsa_float_round_mode_32 0
		.amdhsa_float_round_mode_16_64 0
		.amdhsa_float_denorm_mode_32 3
		.amdhsa_float_denorm_mode_16_64 3
		.amdhsa_dx10_clamp 1
		.amdhsa_ieee_mode 1
		.amdhsa_fp16_overflow 0
		.amdhsa_exception_fp_ieee_invalid_op 0
		.amdhsa_exception_fp_denorm_src 0
		.amdhsa_exception_fp_ieee_div_zero 0
		.amdhsa_exception_fp_ieee_overflow 0
		.amdhsa_exception_fp_ieee_underflow 0
		.amdhsa_exception_fp_ieee_inexact 0
		.amdhsa_exception_int_div_zero 0
	.end_amdhsa_kernel
	.section	.text._ZN2at6native30max_unpooling2d_forward_kernelIfEEvlPKT_PKllllllPS2_,"axG",@progbits,_ZN2at6native30max_unpooling2d_forward_kernelIfEEvlPKT_PKllllllPS2_,comdat
.Lfunc_end6:
	.size	_ZN2at6native30max_unpooling2d_forward_kernelIfEEvlPKT_PKllllllPS2_, .Lfunc_end6-_ZN2at6native30max_unpooling2d_forward_kernelIfEEvlPKT_PKllllllPS2_
                                        ; -- End function
	.set _ZN2at6native30max_unpooling2d_forward_kernelIfEEvlPKT_PKllllllPS2_.num_vgpr, 23
	.set _ZN2at6native30max_unpooling2d_forward_kernelIfEEvlPKT_PKllllllPS2_.num_agpr, 0
	.set _ZN2at6native30max_unpooling2d_forward_kernelIfEEvlPKT_PKllllllPS2_.numbered_sgpr, 42
	.set _ZN2at6native30max_unpooling2d_forward_kernelIfEEvlPKT_PKllllllPS2_.num_named_barrier, 0
	.set _ZN2at6native30max_unpooling2d_forward_kernelIfEEvlPKT_PKllllllPS2_.private_seg_size, 0
	.set _ZN2at6native30max_unpooling2d_forward_kernelIfEEvlPKT_PKllllllPS2_.uses_vcc, 1
	.set _ZN2at6native30max_unpooling2d_forward_kernelIfEEvlPKT_PKllllllPS2_.uses_flat_scratch, 0
	.set _ZN2at6native30max_unpooling2d_forward_kernelIfEEvlPKT_PKllllllPS2_.has_dyn_sized_stack, 0
	.set _ZN2at6native30max_unpooling2d_forward_kernelIfEEvlPKT_PKllllllPS2_.has_recursion, 0
	.set _ZN2at6native30max_unpooling2d_forward_kernelIfEEvlPKT_PKllllllPS2_.has_indirect_call, 0
	.section	.AMDGPU.csdata,"",@progbits
; Kernel info:
; codeLenInByte = 2648
; TotalNumSgprs: 46
; NumVgprs: 23
; ScratchSize: 0
; MemoryBound: 0
; FloatMode: 240
; IeeeMode: 1
; LDSByteSize: 0 bytes/workgroup (compile time only)
; SGPRBlocks: 5
; VGPRBlocks: 5
; NumSGPRsForWavesPerEU: 46
; NumVGPRsForWavesPerEU: 23
; Occupancy: 10
; WaveLimiterHint : 1
; COMPUTE_PGM_RSRC2:SCRATCH_EN: 0
; COMPUTE_PGM_RSRC2:USER_SGPR: 6
; COMPUTE_PGM_RSRC2:TRAP_HANDLER: 0
; COMPUTE_PGM_RSRC2:TGID_X_EN: 1
; COMPUTE_PGM_RSRC2:TGID_Y_EN: 0
; COMPUTE_PGM_RSRC2:TGID_Z_EN: 0
; COMPUTE_PGM_RSRC2:TIDIG_COMP_CNT: 0
	.section	.text._ZN2at6native30max_unpooling2d_forward_kernelIN3c104HalfEEEvlPKT_PKllllllPS4_,"axG",@progbits,_ZN2at6native30max_unpooling2d_forward_kernelIN3c104HalfEEEvlPKT_PKllllllPS4_,comdat
	.protected	_ZN2at6native30max_unpooling2d_forward_kernelIN3c104HalfEEEvlPKT_PKllllllPS4_ ; -- Begin function _ZN2at6native30max_unpooling2d_forward_kernelIN3c104HalfEEEvlPKT_PKllllllPS4_
	.globl	_ZN2at6native30max_unpooling2d_forward_kernelIN3c104HalfEEEvlPKT_PKllllllPS4_
	.p2align	8
	.type	_ZN2at6native30max_unpooling2d_forward_kernelIN3c104HalfEEEvlPKT_PKllllllPS4_,@function
_ZN2at6native30max_unpooling2d_forward_kernelIN3c104HalfEEEvlPKT_PKllllllPS4_: ; @_ZN2at6native30max_unpooling2d_forward_kernelIN3c104HalfEEEvlPKT_PKllllllPS4_
; %bb.0:
	s_load_dword s2, s[4:5], 0x54
	s_load_dwordx16 s[8:23], s[4:5], 0x0
	s_add_u32 s0, s4, 0x48
	v_mov_b32_e32 v2, 0
	s_addc_u32 s1, s5, 0
	s_waitcnt lgkmcnt(0)
	s_and_b32 s7, s2, 0xffff
	v_mov_b32_e32 v1, v2
	v_mov_b32_e32 v3, s6
	v_mad_u64_u32 v[0:1], s[2:3], s7, v3, v[0:1]
	v_cmp_gt_i64_e32 vcc, s[8:9], v[0:1]
	s_and_saveexec_b64 s[2:3], vcc
	s_cbranch_execz .LBB7_18
; %bb.1:
	s_load_dwordx2 s[24:25], s[4:5], 0x40
	s_mul_i32 s2, s22, s21
	s_load_dword s0, s[0:1], 0x0
	s_mul_hi_u32 s3, s22, s20
	v_mov_b32_e32 v3, v0
	s_add_i32 s1, s3, s2
	s_mul_i32 s2, s23, s20
	s_waitcnt lgkmcnt(0)
	s_mul_i32 s33, s0, s7
	v_mov_b32_e32 v4, s24
	v_mov_b32_e32 v7, v3
	s_add_i32 s3, s1, s2
	s_mul_i32 s2, s22, s20
	s_mov_b32 s36, s33
	s_mov_b64 s[4:5], 0
	v_mov_b32_e32 v5, s25
	v_mov_b32_e32 v16, s13
	s_ashr_i32 s20, s19, 31
	v_mov_b32_e32 v6, v2
                                        ; implicit-def: $sgpr6_sgpr7
                                        ; implicit-def: $sgpr24_sgpr25
                                        ; implicit-def: $sgpr22_sgpr23
.LBB7_2:                                ; =>This Inner Loop Header: Depth=1
	v_ashrrev_i64 v[8:9], 29, v[6:7]
	s_or_b64 s[22:23], s[22:23], exec
	v_add_co_u32_e32 v8, vcc, s12, v8
	v_addc_co_u32_e32 v9, vcc, v16, v9, vcc
	global_load_dwordx2 v[8:9], v[8:9], off
	s_or_b64 s[24:25], s[24:25], exec
	s_waitcnt vmcnt(0)
	v_ashrrev_i32_e32 v9, 31, v8
	v_cmp_gt_i64_e32 vcc, s[2:3], v[8:9]
	v_cmp_lt_i32_e64 s[0:1], -1, v8
	s_and_b64 s[0:1], s[0:1], vcc
	s_and_saveexec_b64 s[26:27], s[0:1]
	s_cbranch_execz .LBB7_16
; %bb.3:                                ;   in Loop: Header=BB7_2 Depth=1
	v_ashrrev_i32_e32 v11, 31, v7
	v_or_b32_e32 v3, s19, v11
	v_cmp_ne_u64_e32 vcc, 0, v[2:3]
	v_mov_b32_e32 v10, v7
                                        ; implicit-def: $vgpr14_vgpr15
	s_and_saveexec_b64 s[0:1], vcc
	s_xor_b64 s[28:29], exec, s[0:1]
	s_cbranch_execz .LBB7_5
; %bb.4:                                ;   in Loop: Header=BB7_2 Depth=1
	s_add_u32 s0, s18, s20
	s_mov_b32 s21, s20
	s_addc_u32 s1, s19, s20
	s_xor_b64 s[30:31], s[0:1], s[20:21]
	v_cvt_f32_u32_e32 v3, s30
	v_cvt_f32_u32_e32 v12, s31
	s_sub_u32 s13, 0, s30
	s_subb_u32 s21, 0, s31
	v_mac_f32_e32 v3, 0x4f800000, v12
	v_rcp_f32_e32 v3, v3
	v_mul_f32_e32 v3, 0x5f7ffffc, v3
	v_mul_f32_e32 v12, 0x2f800000, v3
	v_trunc_f32_e32 v12, v12
	v_mac_f32_e32 v3, 0xcf800000, v12
	v_cvt_u32_f32_e32 v12, v12
	v_cvt_u32_f32_e32 v3, v3
	v_readfirstlane_b32 s34, v12
	v_readfirstlane_b32 s0, v3
	s_mul_i32 s1, s13, s34
	s_mul_hi_u32 s37, s13, s0
	s_mul_i32 s35, s21, s0
	s_add_i32 s1, s37, s1
	s_add_i32 s1, s1, s35
	s_mul_i32 s38, s13, s0
	s_mul_i32 s37, s0, s1
	s_mul_hi_u32 s39, s0, s38
	s_mul_hi_u32 s35, s0, s1
	s_add_u32 s37, s39, s37
	s_addc_u32 s35, 0, s35
	s_mul_hi_u32 s40, s34, s38
	s_mul_i32 s38, s34, s38
	s_add_u32 s37, s37, s38
	s_mul_hi_u32 s39, s34, s1
	s_addc_u32 s35, s35, s40
	s_addc_u32 s37, s39, 0
	s_mul_i32 s1, s34, s1
	s_add_u32 s1, s35, s1
	s_addc_u32 s35, 0, s37
	s_add_u32 s37, s0, s1
	s_cselect_b64 s[0:1], -1, 0
	s_cmp_lg_u64 s[0:1], 0
	s_addc_u32 s34, s34, s35
	s_mul_i32 s0, s13, s34
	s_mul_hi_u32 s1, s13, s37
	s_add_i32 s0, s1, s0
	s_mul_i32 s21, s21, s37
	s_add_i32 s0, s0, s21
	s_mul_i32 s13, s13, s37
	s_mul_hi_u32 s21, s34, s13
	s_mul_i32 s35, s34, s13
	s_mul_i32 s39, s37, s0
	s_mul_hi_u32 s13, s37, s13
	s_mul_hi_u32 s38, s37, s0
	s_add_u32 s13, s13, s39
	s_addc_u32 s38, 0, s38
	s_add_u32 s13, s13, s35
	s_mul_hi_u32 s1, s34, s0
	s_addc_u32 s13, s38, s21
	s_addc_u32 s1, s1, 0
	s_mul_i32 s0, s34, s0
	s_add_u32 s0, s13, s0
	s_addc_u32 s13, 0, s1
	s_add_u32 s21, s37, s0
	s_cselect_b64 s[0:1], -1, 0
	v_ashrrev_i32_e32 v3, 31, v11
	s_cmp_lg_u64 s[0:1], 0
	v_add_co_u32_e32 v12, vcc, v10, v3
	s_addc_u32 s13, s34, s13
	v_xor_b32_e32 v17, v12, v3
	v_mad_u64_u32 v[12:13], s[0:1], v17, s13, 0
	v_mul_hi_u32 v15, v17, s21
	v_addc_co_u32_e32 v14, vcc, v11, v3, vcc
	v_xor_b32_e32 v18, v14, v3
	v_add_co_u32_e32 v19, vcc, v15, v12
	v_addc_co_u32_e32 v20, vcc, 0, v13, vcc
	v_mad_u64_u32 v[12:13], s[0:1], v18, s21, 0
	v_mad_u64_u32 v[14:15], s[0:1], v18, s13, 0
	v_add_co_u32_e32 v12, vcc, v19, v12
	v_addc_co_u32_e32 v12, vcc, v20, v13, vcc
	v_addc_co_u32_e32 v13, vcc, 0, v15, vcc
	v_add_co_u32_e32 v14, vcc, v12, v14
	v_addc_co_u32_e32 v15, vcc, 0, v13, vcc
	v_mul_lo_u32 v19, s31, v14
	v_mul_lo_u32 v20, s30, v15
	v_mad_u64_u32 v[12:13], s[0:1], s30, v14, 0
	v_xor_b32_e32 v3, s20, v3
	v_add3_u32 v13, v13, v20, v19
	v_sub_u32_e32 v19, v18, v13
	v_mov_b32_e32 v20, s31
	v_sub_co_u32_e32 v12, vcc, v17, v12
	v_subb_co_u32_e64 v17, s[0:1], v19, v20, vcc
	v_subrev_co_u32_e64 v19, s[0:1], s30, v12
	v_subbrev_co_u32_e64 v17, s[0:1], 0, v17, s[0:1]
	v_cmp_le_u32_e64 s[0:1], s31, v17
	v_cndmask_b32_e64 v20, 0, -1, s[0:1]
	v_cmp_le_u32_e64 s[0:1], s30, v19
	v_cndmask_b32_e64 v19, 0, -1, s[0:1]
	v_cmp_eq_u32_e64 s[0:1], s31, v17
	v_cndmask_b32_e64 v17, v20, v19, s[0:1]
	v_add_co_u32_e64 v19, s[0:1], 2, v14
	v_subb_co_u32_e32 v13, vcc, v18, v13, vcc
	v_addc_co_u32_e64 v20, s[0:1], 0, v15, s[0:1]
	v_cmp_le_u32_e32 vcc, s31, v13
	v_add_co_u32_e64 v21, s[0:1], 1, v14
	v_cndmask_b32_e64 v18, 0, -1, vcc
	v_cmp_le_u32_e32 vcc, s30, v12
	v_addc_co_u32_e64 v22, s[0:1], 0, v15, s[0:1]
	v_cndmask_b32_e64 v12, 0, -1, vcc
	v_cmp_eq_u32_e32 vcc, s31, v13
	v_cmp_ne_u32_e64 s[0:1], 0, v17
	v_cndmask_b32_e32 v12, v18, v12, vcc
	v_cmp_ne_u32_e32 vcc, 0, v12
	v_cndmask_b32_e64 v13, v21, v19, s[0:1]
	v_cndmask_b32_e64 v17, v22, v20, s[0:1]
	v_cndmask_b32_e32 v13, v14, v13, vcc
	v_cndmask_b32_e32 v12, v15, v17, vcc
	v_xor_b32_e32 v13, v13, v3
	v_xor_b32_e32 v12, v12, v3
	v_sub_co_u32_e32 v14, vcc, v13, v3
	v_subb_co_u32_e32 v15, vcc, v12, v3, vcc
.LBB7_5:                                ;   in Loop: Header=BB7_2 Depth=1
	s_andn2_saveexec_b64 s[0:1], s[28:29]
	s_cbranch_execz .LBB7_7
; %bb.6:                                ;   in Loop: Header=BB7_2 Depth=1
	v_cvt_f32_u32_e32 v3, s18
	s_sub_i32 s13, 0, s18
	v_mov_b32_e32 v15, v2
	v_rcp_iflag_f32_e32 v3, v3
	v_mul_f32_e32 v3, 0x4f7ffffe, v3
	v_cvt_u32_f32_e32 v3, v3
	v_mul_lo_u32 v12, s13, v3
	v_mul_hi_u32 v12, v3, v12
	v_add_u32_e32 v3, v3, v12
	v_mul_hi_u32 v3, v7, v3
	v_mul_lo_u32 v12, v3, s18
	v_add_u32_e32 v13, 1, v3
	v_sub_u32_e32 v12, v7, v12
	v_subrev_u32_e32 v14, s18, v12
	v_cmp_le_u32_e32 vcc, s18, v12
	v_cndmask_b32_e32 v12, v12, v14, vcc
	v_cndmask_b32_e32 v3, v3, v13, vcc
	v_add_u32_e32 v13, 1, v3
	v_cmp_le_u32_e32 vcc, s18, v12
	v_cndmask_b32_e32 v14, v3, v13, vcc
.LBB7_7:                                ;   in Loop: Header=BB7_2 Depth=1
	s_or_b64 exec, exec, s[0:1]
	v_or_b32_e32 v3, s17, v15
	v_cmp_ne_u64_e32 vcc, 0, v[2:3]
                                        ; implicit-def: $vgpr12_vgpr13
	s_and_saveexec_b64 s[0:1], vcc
	s_xor_b64 s[28:29], exec, s[0:1]
	s_cbranch_execz .LBB7_9
; %bb.8:                                ;   in Loop: Header=BB7_2 Depth=1
	s_ashr_i32 s30, s17, 31
	s_add_u32 s0, s16, s30
	s_mov_b32 s31, s30
	s_addc_u32 s1, s17, s30
	s_xor_b64 s[34:35], s[0:1], s[30:31]
	v_cvt_f32_u32_e32 v3, s34
	v_cvt_f32_u32_e32 v12, s35
	s_sub_u32 s13, 0, s34
	s_subb_u32 s21, 0, s35
	v_mac_f32_e32 v3, 0x4f800000, v12
	v_rcp_f32_e32 v3, v3
	v_mul_f32_e32 v3, 0x5f7ffffc, v3
	v_mul_f32_e32 v12, 0x2f800000, v3
	v_trunc_f32_e32 v12, v12
	v_mac_f32_e32 v3, 0xcf800000, v12
	v_cvt_u32_f32_e32 v12, v12
	v_cvt_u32_f32_e32 v3, v3
	v_readfirstlane_b32 s31, v12
	v_readfirstlane_b32 s0, v3
	s_mul_i32 s1, s13, s31
	s_mul_hi_u32 s38, s13, s0
	s_mul_i32 s37, s21, s0
	s_add_i32 s1, s38, s1
	s_add_i32 s1, s1, s37
	s_mul_i32 s39, s13, s0
	s_mul_i32 s38, s0, s1
	s_mul_hi_u32 s40, s0, s39
	s_mul_hi_u32 s37, s0, s1
	s_add_u32 s38, s40, s38
	s_addc_u32 s37, 0, s37
	s_mul_hi_u32 s41, s31, s39
	s_mul_i32 s39, s31, s39
	s_add_u32 s38, s38, s39
	s_mul_hi_u32 s40, s31, s1
	s_addc_u32 s37, s37, s41
	s_addc_u32 s38, s40, 0
	s_mul_i32 s1, s31, s1
	s_add_u32 s1, s37, s1
	s_addc_u32 s37, 0, s38
	s_add_u32 s38, s0, s1
	s_cselect_b64 s[0:1], -1, 0
	s_cmp_lg_u64 s[0:1], 0
	s_addc_u32 s31, s31, s37
	s_mul_i32 s0, s13, s31
	s_mul_hi_u32 s1, s13, s38
	s_add_i32 s0, s1, s0
	s_mul_i32 s21, s21, s38
	s_add_i32 s0, s0, s21
	s_mul_i32 s13, s13, s38
	s_mul_hi_u32 s21, s31, s13
	s_mul_i32 s37, s31, s13
	s_mul_i32 s40, s38, s0
	s_mul_hi_u32 s13, s38, s13
	s_mul_hi_u32 s39, s38, s0
	s_add_u32 s13, s13, s40
	s_addc_u32 s39, 0, s39
	s_add_u32 s13, s13, s37
	s_mul_hi_u32 s1, s31, s0
	s_addc_u32 s13, s39, s21
	s_addc_u32 s1, s1, 0
	s_mul_i32 s0, s31, s0
	s_add_u32 s0, s13, s0
	s_addc_u32 s13, 0, s1
	s_add_u32 s21, s38, s0
	s_cselect_b64 s[0:1], -1, 0
	v_ashrrev_i32_e32 v3, 31, v15
	s_cmp_lg_u64 s[0:1], 0
	v_add_co_u32_e32 v12, vcc, v14, v3
	s_addc_u32 s13, s31, s13
	v_xor_b32_e32 v17, v12, v3
	v_addc_co_u32_e32 v14, vcc, v15, v3, vcc
	v_mad_u64_u32 v[12:13], s[0:1], v17, s13, 0
	v_mul_hi_u32 v15, v17, s21
	v_xor_b32_e32 v18, v14, v3
	v_xor_b32_e32 v3, s30, v3
	v_add_co_u32_e32 v19, vcc, v15, v12
	v_addc_co_u32_e32 v20, vcc, 0, v13, vcc
	v_mad_u64_u32 v[12:13], s[0:1], v18, s21, 0
	v_mad_u64_u32 v[14:15], s[0:1], v18, s13, 0
	v_add_co_u32_e32 v12, vcc, v19, v12
	v_addc_co_u32_e32 v12, vcc, v20, v13, vcc
	v_addc_co_u32_e32 v13, vcc, 0, v15, vcc
	v_add_co_u32_e32 v14, vcc, v12, v14
	v_addc_co_u32_e32 v15, vcc, 0, v13, vcc
	v_mul_lo_u32 v19, s35, v14
	v_mul_lo_u32 v20, s34, v15
	v_mad_u64_u32 v[12:13], s[0:1], s34, v14, 0
	v_add3_u32 v13, v13, v20, v19
	v_sub_u32_e32 v19, v18, v13
	v_mov_b32_e32 v20, s35
	v_sub_co_u32_e32 v12, vcc, v17, v12
	v_subb_co_u32_e64 v17, s[0:1], v19, v20, vcc
	v_subrev_co_u32_e64 v19, s[0:1], s34, v12
	v_subbrev_co_u32_e64 v17, s[0:1], 0, v17, s[0:1]
	v_cmp_le_u32_e64 s[0:1], s35, v17
	v_cndmask_b32_e64 v20, 0, -1, s[0:1]
	v_cmp_le_u32_e64 s[0:1], s34, v19
	v_cndmask_b32_e64 v19, 0, -1, s[0:1]
	v_cmp_eq_u32_e64 s[0:1], s35, v17
	v_cndmask_b32_e64 v17, v20, v19, s[0:1]
	v_add_co_u32_e64 v19, s[0:1], 2, v14
	v_subb_co_u32_e32 v13, vcc, v18, v13, vcc
	v_addc_co_u32_e64 v20, s[0:1], 0, v15, s[0:1]
	v_cmp_le_u32_e32 vcc, s35, v13
	v_add_co_u32_e64 v21, s[0:1], 1, v14
	v_cndmask_b32_e64 v18, 0, -1, vcc
	v_cmp_le_u32_e32 vcc, s34, v12
	v_addc_co_u32_e64 v22, s[0:1], 0, v15, s[0:1]
	v_cndmask_b32_e64 v12, 0, -1, vcc
	v_cmp_eq_u32_e32 vcc, s35, v13
	v_cmp_ne_u32_e64 s[0:1], 0, v17
	v_cndmask_b32_e32 v12, v18, v12, vcc
	v_cndmask_b32_e64 v17, v22, v20, s[0:1]
	v_cmp_ne_u32_e32 vcc, 0, v12
	v_cndmask_b32_e64 v13, v21, v19, s[0:1]
	v_cndmask_b32_e32 v12, v15, v17, vcc
	v_cndmask_b32_e32 v13, v14, v13, vcc
	v_xor_b32_e32 v14, v12, v3
	v_xor_b32_e32 v12, v13, v3
	v_sub_co_u32_e32 v12, vcc, v12, v3
	v_subb_co_u32_e32 v13, vcc, v14, v3, vcc
                                        ; implicit-def: $vgpr14_vgpr15
.LBB7_9:                                ;   in Loop: Header=BB7_2 Depth=1
	s_andn2_saveexec_b64 s[0:1], s[28:29]
	s_cbranch_execz .LBB7_11
; %bb.10:                               ;   in Loop: Header=BB7_2 Depth=1
	v_cvt_f32_u32_e32 v3, s16
	s_sub_i32 s13, 0, s16
	v_rcp_iflag_f32_e32 v3, v3
	v_mul_f32_e32 v3, 0x4f7ffffe, v3
	v_cvt_u32_f32_e32 v3, v3
	v_mul_lo_u32 v12, s13, v3
	v_mul_hi_u32 v12, v3, v12
	v_add_u32_e32 v3, v3, v12
	v_mul_hi_u32 v3, v14, v3
	v_mul_lo_u32 v12, v3, s16
	v_add_u32_e32 v13, 1, v3
	v_sub_u32_e32 v12, v14, v12
	v_subrev_u32_e32 v14, s16, v12
	v_cmp_le_u32_e32 vcc, s16, v12
	v_cndmask_b32_e32 v12, v12, v14, vcc
	v_cndmask_b32_e32 v3, v3, v13, vcc
	v_add_u32_e32 v13, 1, v3
	v_cmp_le_u32_e32 vcc, s16, v12
	v_cndmask_b32_e32 v12, v3, v13, vcc
	v_mov_b32_e32 v13, v2
.LBB7_11:                               ;   in Loop: Header=BB7_2 Depth=1
	s_or_b64 exec, exec, s[0:1]
	v_or_b32_e32 v3, s15, v13
	v_cmp_ne_u64_e32 vcc, 0, v[2:3]
                                        ; implicit-def: $vgpr14_vgpr15
	s_and_saveexec_b64 s[0:1], vcc
	s_xor_b64 s[28:29], exec, s[0:1]
	s_cbranch_execz .LBB7_13
; %bb.12:                               ;   in Loop: Header=BB7_2 Depth=1
	s_ashr_i32 s30, s15, 31
	s_add_u32 s0, s14, s30
	s_mov_b32 s31, s30
	s_addc_u32 s1, s15, s30
	s_xor_b64 s[34:35], s[0:1], s[30:31]
	v_cvt_f32_u32_e32 v3, s34
	v_cvt_f32_u32_e32 v14, s35
	s_sub_u32 s13, 0, s34
	s_subb_u32 s21, 0, s35
	v_mac_f32_e32 v3, 0x4f800000, v14
	v_rcp_f32_e32 v3, v3
	v_mul_f32_e32 v3, 0x5f7ffffc, v3
	v_mul_f32_e32 v14, 0x2f800000, v3
	v_trunc_f32_e32 v14, v14
	v_mac_f32_e32 v3, 0xcf800000, v14
	v_cvt_u32_f32_e32 v14, v14
	v_cvt_u32_f32_e32 v3, v3
	v_readfirstlane_b32 s31, v14
	v_readfirstlane_b32 s0, v3
	s_mul_i32 s1, s13, s31
	s_mul_hi_u32 s38, s13, s0
	s_mul_i32 s37, s21, s0
	s_add_i32 s1, s38, s1
	s_add_i32 s1, s1, s37
	s_mul_i32 s39, s13, s0
	s_mul_i32 s38, s0, s1
	s_mul_hi_u32 s40, s0, s39
	s_mul_hi_u32 s37, s0, s1
	s_add_u32 s38, s40, s38
	s_addc_u32 s37, 0, s37
	s_mul_hi_u32 s41, s31, s39
	s_mul_i32 s39, s31, s39
	s_add_u32 s38, s38, s39
	s_mul_hi_u32 s40, s31, s1
	s_addc_u32 s37, s37, s41
	s_addc_u32 s38, s40, 0
	s_mul_i32 s1, s31, s1
	s_add_u32 s1, s37, s1
	s_addc_u32 s37, 0, s38
	s_add_u32 s38, s0, s1
	s_cselect_b64 s[0:1], -1, 0
	s_cmp_lg_u64 s[0:1], 0
	s_addc_u32 s31, s31, s37
	s_mul_i32 s0, s13, s31
	s_mul_hi_u32 s1, s13, s38
	s_add_i32 s0, s1, s0
	s_mul_i32 s21, s21, s38
	s_add_i32 s0, s0, s21
	s_mul_i32 s13, s13, s38
	s_mul_hi_u32 s21, s31, s13
	s_mul_i32 s37, s31, s13
	s_mul_i32 s40, s38, s0
	s_mul_hi_u32 s13, s38, s13
	s_mul_hi_u32 s39, s38, s0
	s_add_u32 s13, s13, s40
	s_addc_u32 s39, 0, s39
	s_add_u32 s13, s13, s37
	s_mul_hi_u32 s1, s31, s0
	s_addc_u32 s13, s39, s21
	s_addc_u32 s1, s1, 0
	s_mul_i32 s0, s31, s0
	s_add_u32 s0, s13, s0
	s_addc_u32 s13, 0, s1
	s_add_u32 s21, s38, s0
	s_cselect_b64 s[0:1], -1, 0
	v_ashrrev_i32_e32 v3, 31, v13
	s_cmp_lg_u64 s[0:1], 0
	v_add_co_u32_e32 v14, vcc, v12, v3
	s_addc_u32 s13, s31, s13
	v_xor_b32_e32 v19, v14, v3
	v_addc_co_u32_e32 v15, vcc, v13, v3, vcc
	v_mad_u64_u32 v[13:14], s[0:1], v19, s13, 0
	v_mul_hi_u32 v17, v19, s21
	v_xor_b32_e32 v15, v15, v3
	v_xor_b32_e32 v3, s30, v3
	v_add_co_u32_e32 v20, vcc, v17, v13
	v_addc_co_u32_e32 v21, vcc, 0, v14, vcc
	v_mad_u64_u32 v[13:14], s[0:1], v15, s21, 0
	v_mad_u64_u32 v[17:18], s[0:1], v15, s13, 0
	v_add_co_u32_e32 v13, vcc, v20, v13
	v_addc_co_u32_e32 v13, vcc, v21, v14, vcc
	v_addc_co_u32_e32 v14, vcc, 0, v18, vcc
	v_add_co_u32_e32 v17, vcc, v13, v17
	v_addc_co_u32_e32 v13, vcc, 0, v14, vcc
	v_mul_lo_u32 v18, s35, v17
	v_mul_lo_u32 v20, s34, v13
	v_mad_u64_u32 v[13:14], s[0:1], s34, v17, 0
	v_add3_u32 v14, v14, v20, v18
	v_sub_u32_e32 v18, v15, v14
	v_mov_b32_e32 v20, s35
	v_sub_co_u32_e32 v13, vcc, v19, v13
	v_subb_co_u32_e64 v18, s[0:1], v18, v20, vcc
	v_subrev_co_u32_e64 v19, s[0:1], s34, v13
	v_subbrev_co_u32_e64 v18, s[0:1], 0, v18, s[0:1]
	v_cmp_le_u32_e64 s[0:1], s35, v18
	v_subb_co_u32_e32 v14, vcc, v15, v14, vcc
	v_cndmask_b32_e64 v20, 0, -1, s[0:1]
	v_cmp_le_u32_e64 s[0:1], s34, v19
	v_cmp_le_u32_e32 vcc, s35, v14
	v_cndmask_b32_e64 v19, 0, -1, s[0:1]
	v_cmp_eq_u32_e64 s[0:1], s35, v18
	v_cndmask_b32_e64 v15, 0, -1, vcc
	v_cmp_le_u32_e32 vcc, s34, v13
	v_cndmask_b32_e64 v18, v20, v19, s[0:1]
	v_cndmask_b32_e64 v13, 0, -1, vcc
	v_cmp_eq_u32_e32 vcc, s35, v14
	v_add_co_u32_e64 v19, s[0:1], 2, v17
	v_add_co_u32_e64 v20, s[0:1], 1, v17
	v_cndmask_b32_e32 v13, v15, v13, vcc
	v_cmp_ne_u32_e32 vcc, 0, v18
	v_cndmask_b32_e32 v14, v20, v19, vcc
	v_cmp_ne_u32_e32 vcc, 0, v13
	v_cndmask_b32_e32 v13, v17, v14, vcc
	v_xor_b32_e32 v13, v13, v3
	v_sub_co_u32_e32 v14, vcc, v13, v3
.LBB7_13:                               ;   in Loop: Header=BB7_2 Depth=1
	s_andn2_saveexec_b64 s[0:1], s[28:29]
	s_cbranch_execz .LBB7_15
; %bb.14:                               ;   in Loop: Header=BB7_2 Depth=1
	v_cvt_f32_u32_e32 v3, s14
	s_sub_i32 s13, 0, s14
	v_rcp_iflag_f32_e32 v3, v3
	v_mul_f32_e32 v3, 0x4f7ffffe, v3
	v_cvt_u32_f32_e32 v3, v3
	v_mul_lo_u32 v13, s13, v3
	v_mul_hi_u32 v13, v3, v13
	v_add_u32_e32 v3, v3, v13
	v_mul_hi_u32 v3, v12, v3
	v_mul_lo_u32 v13, v3, s14
	v_add_u32_e32 v14, 1, v3
	v_sub_u32_e32 v13, v12, v13
	v_subrev_u32_e32 v15, s14, v13
	v_cmp_le_u32_e32 vcc, s14, v13
	v_cndmask_b32_e32 v13, v13, v15, vcc
	v_cndmask_b32_e32 v3, v3, v14, vcc
	v_add_u32_e32 v14, 1, v3
	v_cmp_le_u32_e32 vcc, s14, v13
	v_cndmask_b32_e32 v14, v3, v14, vcc
.LBB7_15:                               ;   in Loop: Header=BB7_2 Depth=1
	s_or_b64 exec, exec, s[0:1]
	v_lshlrev_b64 v[10:11], 1, v[10:11]
	v_mov_b32_e32 v3, s11
	v_add_co_u32_e32 v10, vcc, s10, v10
	v_addc_co_u32_e32 v11, vcc, v3, v11, vcc
	global_load_ushort v3, v[10:11], off
	v_mul_lo_u32 v11, v14, s14
	v_ashrrev_i32_e32 v10, 31, v14
	v_mul_lo_u32 v17, v10, s14
	v_mul_lo_u32 v13, v14, s15
	v_sub_u32_e32 v10, v12, v11
	v_ashrrev_i32_e32 v11, 31, v10
	v_mad_u64_u32 v[10:11], s[0:1], v14, s14, v[10:11]
	v_add_co_u32_e32 v0, vcc, s33, v0
	v_add3_u32 v12, v17, v11, v13
	v_mul_lo_u32 v13, s3, v10
	v_mad_u64_u32 v[10:11], s[0:1], s2, v10, 0
	v_mul_lo_u32 v12, s2, v12
	v_addc_co_u32_e32 v1, vcc, 0, v1, vcc
	v_mov_b32_e32 v15, s36
	v_add3_u32 v11, v11, v12, v13
	v_cmp_le_i64_e32 vcc, s[8:9], v[0:1]
	v_add_co_u32_e64 v6, s[0:1], 0, v6
	v_lshlrev_b64 v[10:11], 1, v[10:11]
	v_addc_co_u32_e64 v7, s[0:1], v7, v15, s[0:1]
	v_lshlrev_b64 v[8:9], 1, v[8:9]
	s_and_b64 s[0:1], vcc, exec
	v_add_co_u32_e32 v4, vcc, v4, v10
	v_addc_co_u32_e32 v5, vcc, v5, v11, vcc
	s_andn2_b64 s[24:25], s[24:25], exec
	v_add_co_u32_e32 v8, vcc, v4, v8
	s_andn2_b64 s[22:23], s[22:23], exec
	v_addc_co_u32_e32 v9, vcc, v5, v9, vcc
	s_or_b64 s[24:25], s[24:25], s[0:1]
	s_waitcnt vmcnt(0)
	global_store_short v[8:9], v3, off
.LBB7_16:                               ;   in Loop: Header=BB7_2 Depth=1
	s_or_b64 exec, exec, s[26:27]
	s_and_b64 s[0:1], exec, s[24:25]
	s_or_b64 s[4:5], s[0:1], s[4:5]
	s_andn2_b64 s[0:1], s[6:7], exec
	s_and_b64 s[6:7], s[22:23], exec
	s_or_b64 s[6:7], s[0:1], s[6:7]
	s_andn2_b64 exec, exec, s[4:5]
	s_cbranch_execnz .LBB7_2
; %bb.17:
	s_or_b64 exec, exec, s[4:5]
	s_and_saveexec_b64 s[0:1], s[6:7]
	s_xor_b64 s[0:1], exec, s[0:1]
	s_cbranch_execnz .LBB7_19
.LBB7_18:
	s_endpgm
.LBB7_19:
	s_trap 2
	; divergent unreachable
	s_endpgm
	.section	.rodata,"a",@progbits
	.p2align	6, 0x0
	.amdhsa_kernel _ZN2at6native30max_unpooling2d_forward_kernelIN3c104HalfEEEvlPKT_PKllllllPS4_
		.amdhsa_group_segment_fixed_size 0
		.amdhsa_private_segment_fixed_size 0
		.amdhsa_kernarg_size 328
		.amdhsa_user_sgpr_count 6
		.amdhsa_user_sgpr_private_segment_buffer 1
		.amdhsa_user_sgpr_dispatch_ptr 0
		.amdhsa_user_sgpr_queue_ptr 0
		.amdhsa_user_sgpr_kernarg_segment_ptr 1
		.amdhsa_user_sgpr_dispatch_id 0
		.amdhsa_user_sgpr_flat_scratch_init 0
		.amdhsa_user_sgpr_private_segment_size 0
		.amdhsa_uses_dynamic_stack 0
		.amdhsa_system_sgpr_private_segment_wavefront_offset 0
		.amdhsa_system_sgpr_workgroup_id_x 1
		.amdhsa_system_sgpr_workgroup_id_y 0
		.amdhsa_system_sgpr_workgroup_id_z 0
		.amdhsa_system_sgpr_workgroup_info 0
		.amdhsa_system_vgpr_workitem_id 0
		.amdhsa_next_free_vgpr 23
		.amdhsa_next_free_sgpr 42
		.amdhsa_reserve_vcc 1
		.amdhsa_reserve_flat_scratch 0
		.amdhsa_float_round_mode_32 0
		.amdhsa_float_round_mode_16_64 0
		.amdhsa_float_denorm_mode_32 3
		.amdhsa_float_denorm_mode_16_64 3
		.amdhsa_dx10_clamp 1
		.amdhsa_ieee_mode 1
		.amdhsa_fp16_overflow 0
		.amdhsa_exception_fp_ieee_invalid_op 0
		.amdhsa_exception_fp_denorm_src 0
		.amdhsa_exception_fp_ieee_div_zero 0
		.amdhsa_exception_fp_ieee_overflow 0
		.amdhsa_exception_fp_ieee_underflow 0
		.amdhsa_exception_fp_ieee_inexact 0
		.amdhsa_exception_int_div_zero 0
	.end_amdhsa_kernel
	.section	.text._ZN2at6native30max_unpooling2d_forward_kernelIN3c104HalfEEEvlPKT_PKllllllPS4_,"axG",@progbits,_ZN2at6native30max_unpooling2d_forward_kernelIN3c104HalfEEEvlPKT_PKllllllPS4_,comdat
.Lfunc_end7:
	.size	_ZN2at6native30max_unpooling2d_forward_kernelIN3c104HalfEEEvlPKT_PKllllllPS4_, .Lfunc_end7-_ZN2at6native30max_unpooling2d_forward_kernelIN3c104HalfEEEvlPKT_PKllllllPS4_
                                        ; -- End function
	.set _ZN2at6native30max_unpooling2d_forward_kernelIN3c104HalfEEEvlPKT_PKllllllPS4_.num_vgpr, 23
	.set _ZN2at6native30max_unpooling2d_forward_kernelIN3c104HalfEEEvlPKT_PKllllllPS4_.num_agpr, 0
	.set _ZN2at6native30max_unpooling2d_forward_kernelIN3c104HalfEEEvlPKT_PKllllllPS4_.numbered_sgpr, 42
	.set _ZN2at6native30max_unpooling2d_forward_kernelIN3c104HalfEEEvlPKT_PKllllllPS4_.num_named_barrier, 0
	.set _ZN2at6native30max_unpooling2d_forward_kernelIN3c104HalfEEEvlPKT_PKllllllPS4_.private_seg_size, 0
	.set _ZN2at6native30max_unpooling2d_forward_kernelIN3c104HalfEEEvlPKT_PKllllllPS4_.uses_vcc, 1
	.set _ZN2at6native30max_unpooling2d_forward_kernelIN3c104HalfEEEvlPKT_PKllllllPS4_.uses_flat_scratch, 0
	.set _ZN2at6native30max_unpooling2d_forward_kernelIN3c104HalfEEEvlPKT_PKllllllPS4_.has_dyn_sized_stack, 0
	.set _ZN2at6native30max_unpooling2d_forward_kernelIN3c104HalfEEEvlPKT_PKllllllPS4_.has_recursion, 0
	.set _ZN2at6native30max_unpooling2d_forward_kernelIN3c104HalfEEEvlPKT_PKllllllPS4_.has_indirect_call, 0
	.section	.AMDGPU.csdata,"",@progbits
; Kernel info:
; codeLenInByte = 2648
; TotalNumSgprs: 46
; NumVgprs: 23
; ScratchSize: 0
; MemoryBound: 0
; FloatMode: 240
; IeeeMode: 1
; LDSByteSize: 0 bytes/workgroup (compile time only)
; SGPRBlocks: 5
; VGPRBlocks: 5
; NumSGPRsForWavesPerEU: 46
; NumVGPRsForWavesPerEU: 23
; Occupancy: 10
; WaveLimiterHint : 1
; COMPUTE_PGM_RSRC2:SCRATCH_EN: 0
; COMPUTE_PGM_RSRC2:USER_SGPR: 6
; COMPUTE_PGM_RSRC2:TRAP_HANDLER: 0
; COMPUTE_PGM_RSRC2:TGID_X_EN: 1
; COMPUTE_PGM_RSRC2:TGID_Y_EN: 0
; COMPUTE_PGM_RSRC2:TGID_Z_EN: 0
; COMPUTE_PGM_RSRC2:TIDIG_COMP_CNT: 0
	.section	.text._ZN2at6native30max_unpooling2d_forward_kernelIN3c108BFloat16EEEvlPKT_PKllllllPS4_,"axG",@progbits,_ZN2at6native30max_unpooling2d_forward_kernelIN3c108BFloat16EEEvlPKT_PKllllllPS4_,comdat
	.protected	_ZN2at6native30max_unpooling2d_forward_kernelIN3c108BFloat16EEEvlPKT_PKllllllPS4_ ; -- Begin function _ZN2at6native30max_unpooling2d_forward_kernelIN3c108BFloat16EEEvlPKT_PKllllllPS4_
	.globl	_ZN2at6native30max_unpooling2d_forward_kernelIN3c108BFloat16EEEvlPKT_PKllllllPS4_
	.p2align	8
	.type	_ZN2at6native30max_unpooling2d_forward_kernelIN3c108BFloat16EEEvlPKT_PKllllllPS4_,@function
_ZN2at6native30max_unpooling2d_forward_kernelIN3c108BFloat16EEEvlPKT_PKllllllPS4_: ; @_ZN2at6native30max_unpooling2d_forward_kernelIN3c108BFloat16EEEvlPKT_PKllllllPS4_
; %bb.0:
	s_load_dword s2, s[4:5], 0x54
	s_load_dwordx16 s[8:23], s[4:5], 0x0
	s_add_u32 s0, s4, 0x48
	v_mov_b32_e32 v2, 0
	s_addc_u32 s1, s5, 0
	s_waitcnt lgkmcnt(0)
	s_and_b32 s7, s2, 0xffff
	v_mov_b32_e32 v1, v2
	v_mov_b32_e32 v3, s6
	v_mad_u64_u32 v[0:1], s[2:3], s7, v3, v[0:1]
	v_cmp_gt_i64_e32 vcc, s[8:9], v[0:1]
	s_and_saveexec_b64 s[2:3], vcc
	s_cbranch_execz .LBB8_18
; %bb.1:
	s_load_dwordx2 s[24:25], s[4:5], 0x40
	s_mul_i32 s2, s22, s21
	s_load_dword s0, s[0:1], 0x0
	s_mul_hi_u32 s3, s22, s20
	v_mov_b32_e32 v3, v0
	s_add_i32 s1, s3, s2
	s_mul_i32 s2, s23, s20
	s_waitcnt lgkmcnt(0)
	s_mul_i32 s33, s0, s7
	v_mov_b32_e32 v4, s24
	v_mov_b32_e32 v7, v3
	s_add_i32 s3, s1, s2
	s_mul_i32 s2, s22, s20
	s_mov_b32 s36, s33
	s_mov_b64 s[4:5], 0
	v_mov_b32_e32 v5, s25
	v_mov_b32_e32 v16, s13
	s_ashr_i32 s20, s19, 31
	v_mov_b32_e32 v6, v2
                                        ; implicit-def: $sgpr6_sgpr7
                                        ; implicit-def: $sgpr24_sgpr25
                                        ; implicit-def: $sgpr22_sgpr23
.LBB8_2:                                ; =>This Inner Loop Header: Depth=1
	v_ashrrev_i64 v[8:9], 29, v[6:7]
	s_or_b64 s[22:23], s[22:23], exec
	v_add_co_u32_e32 v8, vcc, s12, v8
	v_addc_co_u32_e32 v9, vcc, v16, v9, vcc
	global_load_dwordx2 v[8:9], v[8:9], off
	s_or_b64 s[24:25], s[24:25], exec
	s_waitcnt vmcnt(0)
	v_ashrrev_i32_e32 v9, 31, v8
	v_cmp_gt_i64_e32 vcc, s[2:3], v[8:9]
	v_cmp_lt_i32_e64 s[0:1], -1, v8
	s_and_b64 s[0:1], s[0:1], vcc
	s_and_saveexec_b64 s[26:27], s[0:1]
	s_cbranch_execz .LBB8_16
; %bb.3:                                ;   in Loop: Header=BB8_2 Depth=1
	v_ashrrev_i32_e32 v11, 31, v7
	v_or_b32_e32 v3, s19, v11
	v_cmp_ne_u64_e32 vcc, 0, v[2:3]
	v_mov_b32_e32 v10, v7
                                        ; implicit-def: $vgpr14_vgpr15
	s_and_saveexec_b64 s[0:1], vcc
	s_xor_b64 s[28:29], exec, s[0:1]
	s_cbranch_execz .LBB8_5
; %bb.4:                                ;   in Loop: Header=BB8_2 Depth=1
	s_add_u32 s0, s18, s20
	s_mov_b32 s21, s20
	s_addc_u32 s1, s19, s20
	s_xor_b64 s[30:31], s[0:1], s[20:21]
	v_cvt_f32_u32_e32 v3, s30
	v_cvt_f32_u32_e32 v12, s31
	s_sub_u32 s13, 0, s30
	s_subb_u32 s21, 0, s31
	v_mac_f32_e32 v3, 0x4f800000, v12
	v_rcp_f32_e32 v3, v3
	v_mul_f32_e32 v3, 0x5f7ffffc, v3
	v_mul_f32_e32 v12, 0x2f800000, v3
	v_trunc_f32_e32 v12, v12
	v_mac_f32_e32 v3, 0xcf800000, v12
	v_cvt_u32_f32_e32 v12, v12
	v_cvt_u32_f32_e32 v3, v3
	v_readfirstlane_b32 s34, v12
	v_readfirstlane_b32 s0, v3
	s_mul_i32 s1, s13, s34
	s_mul_hi_u32 s37, s13, s0
	s_mul_i32 s35, s21, s0
	s_add_i32 s1, s37, s1
	s_add_i32 s1, s1, s35
	s_mul_i32 s38, s13, s0
	s_mul_i32 s37, s0, s1
	s_mul_hi_u32 s39, s0, s38
	s_mul_hi_u32 s35, s0, s1
	s_add_u32 s37, s39, s37
	s_addc_u32 s35, 0, s35
	s_mul_hi_u32 s40, s34, s38
	s_mul_i32 s38, s34, s38
	s_add_u32 s37, s37, s38
	s_mul_hi_u32 s39, s34, s1
	s_addc_u32 s35, s35, s40
	s_addc_u32 s37, s39, 0
	s_mul_i32 s1, s34, s1
	s_add_u32 s1, s35, s1
	s_addc_u32 s35, 0, s37
	s_add_u32 s37, s0, s1
	s_cselect_b64 s[0:1], -1, 0
	s_cmp_lg_u64 s[0:1], 0
	s_addc_u32 s34, s34, s35
	s_mul_i32 s0, s13, s34
	s_mul_hi_u32 s1, s13, s37
	s_add_i32 s0, s1, s0
	s_mul_i32 s21, s21, s37
	s_add_i32 s0, s0, s21
	s_mul_i32 s13, s13, s37
	s_mul_hi_u32 s21, s34, s13
	s_mul_i32 s35, s34, s13
	s_mul_i32 s39, s37, s0
	s_mul_hi_u32 s13, s37, s13
	s_mul_hi_u32 s38, s37, s0
	s_add_u32 s13, s13, s39
	s_addc_u32 s38, 0, s38
	s_add_u32 s13, s13, s35
	s_mul_hi_u32 s1, s34, s0
	s_addc_u32 s13, s38, s21
	s_addc_u32 s1, s1, 0
	s_mul_i32 s0, s34, s0
	s_add_u32 s0, s13, s0
	s_addc_u32 s13, 0, s1
	s_add_u32 s21, s37, s0
	s_cselect_b64 s[0:1], -1, 0
	v_ashrrev_i32_e32 v3, 31, v11
	s_cmp_lg_u64 s[0:1], 0
	v_add_co_u32_e32 v12, vcc, v10, v3
	s_addc_u32 s13, s34, s13
	v_xor_b32_e32 v17, v12, v3
	v_mad_u64_u32 v[12:13], s[0:1], v17, s13, 0
	v_mul_hi_u32 v15, v17, s21
	v_addc_co_u32_e32 v14, vcc, v11, v3, vcc
	v_xor_b32_e32 v18, v14, v3
	v_add_co_u32_e32 v19, vcc, v15, v12
	v_addc_co_u32_e32 v20, vcc, 0, v13, vcc
	v_mad_u64_u32 v[12:13], s[0:1], v18, s21, 0
	v_mad_u64_u32 v[14:15], s[0:1], v18, s13, 0
	v_add_co_u32_e32 v12, vcc, v19, v12
	v_addc_co_u32_e32 v12, vcc, v20, v13, vcc
	v_addc_co_u32_e32 v13, vcc, 0, v15, vcc
	v_add_co_u32_e32 v14, vcc, v12, v14
	v_addc_co_u32_e32 v15, vcc, 0, v13, vcc
	v_mul_lo_u32 v19, s31, v14
	v_mul_lo_u32 v20, s30, v15
	v_mad_u64_u32 v[12:13], s[0:1], s30, v14, 0
	v_xor_b32_e32 v3, s20, v3
	v_add3_u32 v13, v13, v20, v19
	v_sub_u32_e32 v19, v18, v13
	v_mov_b32_e32 v20, s31
	v_sub_co_u32_e32 v12, vcc, v17, v12
	v_subb_co_u32_e64 v17, s[0:1], v19, v20, vcc
	v_subrev_co_u32_e64 v19, s[0:1], s30, v12
	v_subbrev_co_u32_e64 v17, s[0:1], 0, v17, s[0:1]
	v_cmp_le_u32_e64 s[0:1], s31, v17
	v_cndmask_b32_e64 v20, 0, -1, s[0:1]
	v_cmp_le_u32_e64 s[0:1], s30, v19
	v_cndmask_b32_e64 v19, 0, -1, s[0:1]
	v_cmp_eq_u32_e64 s[0:1], s31, v17
	v_cndmask_b32_e64 v17, v20, v19, s[0:1]
	v_add_co_u32_e64 v19, s[0:1], 2, v14
	v_subb_co_u32_e32 v13, vcc, v18, v13, vcc
	v_addc_co_u32_e64 v20, s[0:1], 0, v15, s[0:1]
	v_cmp_le_u32_e32 vcc, s31, v13
	v_add_co_u32_e64 v21, s[0:1], 1, v14
	v_cndmask_b32_e64 v18, 0, -1, vcc
	v_cmp_le_u32_e32 vcc, s30, v12
	v_addc_co_u32_e64 v22, s[0:1], 0, v15, s[0:1]
	v_cndmask_b32_e64 v12, 0, -1, vcc
	v_cmp_eq_u32_e32 vcc, s31, v13
	v_cmp_ne_u32_e64 s[0:1], 0, v17
	v_cndmask_b32_e32 v12, v18, v12, vcc
	v_cmp_ne_u32_e32 vcc, 0, v12
	v_cndmask_b32_e64 v13, v21, v19, s[0:1]
	v_cndmask_b32_e64 v17, v22, v20, s[0:1]
	v_cndmask_b32_e32 v13, v14, v13, vcc
	v_cndmask_b32_e32 v12, v15, v17, vcc
	v_xor_b32_e32 v13, v13, v3
	v_xor_b32_e32 v12, v12, v3
	v_sub_co_u32_e32 v14, vcc, v13, v3
	v_subb_co_u32_e32 v15, vcc, v12, v3, vcc
.LBB8_5:                                ;   in Loop: Header=BB8_2 Depth=1
	s_andn2_saveexec_b64 s[0:1], s[28:29]
	s_cbranch_execz .LBB8_7
; %bb.6:                                ;   in Loop: Header=BB8_2 Depth=1
	v_cvt_f32_u32_e32 v3, s18
	s_sub_i32 s13, 0, s18
	v_mov_b32_e32 v15, v2
	v_rcp_iflag_f32_e32 v3, v3
	v_mul_f32_e32 v3, 0x4f7ffffe, v3
	v_cvt_u32_f32_e32 v3, v3
	v_mul_lo_u32 v12, s13, v3
	v_mul_hi_u32 v12, v3, v12
	v_add_u32_e32 v3, v3, v12
	v_mul_hi_u32 v3, v7, v3
	v_mul_lo_u32 v12, v3, s18
	v_add_u32_e32 v13, 1, v3
	v_sub_u32_e32 v12, v7, v12
	v_subrev_u32_e32 v14, s18, v12
	v_cmp_le_u32_e32 vcc, s18, v12
	v_cndmask_b32_e32 v12, v12, v14, vcc
	v_cndmask_b32_e32 v3, v3, v13, vcc
	v_add_u32_e32 v13, 1, v3
	v_cmp_le_u32_e32 vcc, s18, v12
	v_cndmask_b32_e32 v14, v3, v13, vcc
.LBB8_7:                                ;   in Loop: Header=BB8_2 Depth=1
	s_or_b64 exec, exec, s[0:1]
	v_or_b32_e32 v3, s17, v15
	v_cmp_ne_u64_e32 vcc, 0, v[2:3]
                                        ; implicit-def: $vgpr12_vgpr13
	s_and_saveexec_b64 s[0:1], vcc
	s_xor_b64 s[28:29], exec, s[0:1]
	s_cbranch_execz .LBB8_9
; %bb.8:                                ;   in Loop: Header=BB8_2 Depth=1
	s_ashr_i32 s30, s17, 31
	s_add_u32 s0, s16, s30
	s_mov_b32 s31, s30
	s_addc_u32 s1, s17, s30
	s_xor_b64 s[34:35], s[0:1], s[30:31]
	v_cvt_f32_u32_e32 v3, s34
	v_cvt_f32_u32_e32 v12, s35
	s_sub_u32 s13, 0, s34
	s_subb_u32 s21, 0, s35
	v_mac_f32_e32 v3, 0x4f800000, v12
	v_rcp_f32_e32 v3, v3
	v_mul_f32_e32 v3, 0x5f7ffffc, v3
	v_mul_f32_e32 v12, 0x2f800000, v3
	v_trunc_f32_e32 v12, v12
	v_mac_f32_e32 v3, 0xcf800000, v12
	v_cvt_u32_f32_e32 v12, v12
	v_cvt_u32_f32_e32 v3, v3
	v_readfirstlane_b32 s31, v12
	v_readfirstlane_b32 s0, v3
	s_mul_i32 s1, s13, s31
	s_mul_hi_u32 s38, s13, s0
	s_mul_i32 s37, s21, s0
	s_add_i32 s1, s38, s1
	s_add_i32 s1, s1, s37
	s_mul_i32 s39, s13, s0
	s_mul_i32 s38, s0, s1
	s_mul_hi_u32 s40, s0, s39
	s_mul_hi_u32 s37, s0, s1
	s_add_u32 s38, s40, s38
	s_addc_u32 s37, 0, s37
	s_mul_hi_u32 s41, s31, s39
	s_mul_i32 s39, s31, s39
	s_add_u32 s38, s38, s39
	s_mul_hi_u32 s40, s31, s1
	s_addc_u32 s37, s37, s41
	s_addc_u32 s38, s40, 0
	s_mul_i32 s1, s31, s1
	s_add_u32 s1, s37, s1
	s_addc_u32 s37, 0, s38
	s_add_u32 s38, s0, s1
	s_cselect_b64 s[0:1], -1, 0
	s_cmp_lg_u64 s[0:1], 0
	s_addc_u32 s31, s31, s37
	s_mul_i32 s0, s13, s31
	s_mul_hi_u32 s1, s13, s38
	s_add_i32 s0, s1, s0
	s_mul_i32 s21, s21, s38
	s_add_i32 s0, s0, s21
	s_mul_i32 s13, s13, s38
	s_mul_hi_u32 s21, s31, s13
	s_mul_i32 s37, s31, s13
	s_mul_i32 s40, s38, s0
	s_mul_hi_u32 s13, s38, s13
	s_mul_hi_u32 s39, s38, s0
	s_add_u32 s13, s13, s40
	s_addc_u32 s39, 0, s39
	s_add_u32 s13, s13, s37
	s_mul_hi_u32 s1, s31, s0
	s_addc_u32 s13, s39, s21
	s_addc_u32 s1, s1, 0
	s_mul_i32 s0, s31, s0
	s_add_u32 s0, s13, s0
	s_addc_u32 s13, 0, s1
	s_add_u32 s21, s38, s0
	s_cselect_b64 s[0:1], -1, 0
	v_ashrrev_i32_e32 v3, 31, v15
	s_cmp_lg_u64 s[0:1], 0
	v_add_co_u32_e32 v12, vcc, v14, v3
	s_addc_u32 s13, s31, s13
	v_xor_b32_e32 v17, v12, v3
	v_addc_co_u32_e32 v14, vcc, v15, v3, vcc
	v_mad_u64_u32 v[12:13], s[0:1], v17, s13, 0
	v_mul_hi_u32 v15, v17, s21
	v_xor_b32_e32 v18, v14, v3
	v_xor_b32_e32 v3, s30, v3
	v_add_co_u32_e32 v19, vcc, v15, v12
	v_addc_co_u32_e32 v20, vcc, 0, v13, vcc
	v_mad_u64_u32 v[12:13], s[0:1], v18, s21, 0
	v_mad_u64_u32 v[14:15], s[0:1], v18, s13, 0
	v_add_co_u32_e32 v12, vcc, v19, v12
	v_addc_co_u32_e32 v12, vcc, v20, v13, vcc
	v_addc_co_u32_e32 v13, vcc, 0, v15, vcc
	v_add_co_u32_e32 v14, vcc, v12, v14
	v_addc_co_u32_e32 v15, vcc, 0, v13, vcc
	v_mul_lo_u32 v19, s35, v14
	v_mul_lo_u32 v20, s34, v15
	v_mad_u64_u32 v[12:13], s[0:1], s34, v14, 0
	v_add3_u32 v13, v13, v20, v19
	v_sub_u32_e32 v19, v18, v13
	v_mov_b32_e32 v20, s35
	v_sub_co_u32_e32 v12, vcc, v17, v12
	v_subb_co_u32_e64 v17, s[0:1], v19, v20, vcc
	v_subrev_co_u32_e64 v19, s[0:1], s34, v12
	v_subbrev_co_u32_e64 v17, s[0:1], 0, v17, s[0:1]
	v_cmp_le_u32_e64 s[0:1], s35, v17
	v_cndmask_b32_e64 v20, 0, -1, s[0:1]
	v_cmp_le_u32_e64 s[0:1], s34, v19
	v_cndmask_b32_e64 v19, 0, -1, s[0:1]
	v_cmp_eq_u32_e64 s[0:1], s35, v17
	v_cndmask_b32_e64 v17, v20, v19, s[0:1]
	v_add_co_u32_e64 v19, s[0:1], 2, v14
	v_subb_co_u32_e32 v13, vcc, v18, v13, vcc
	v_addc_co_u32_e64 v20, s[0:1], 0, v15, s[0:1]
	v_cmp_le_u32_e32 vcc, s35, v13
	v_add_co_u32_e64 v21, s[0:1], 1, v14
	v_cndmask_b32_e64 v18, 0, -1, vcc
	v_cmp_le_u32_e32 vcc, s34, v12
	v_addc_co_u32_e64 v22, s[0:1], 0, v15, s[0:1]
	v_cndmask_b32_e64 v12, 0, -1, vcc
	v_cmp_eq_u32_e32 vcc, s35, v13
	v_cmp_ne_u32_e64 s[0:1], 0, v17
	v_cndmask_b32_e32 v12, v18, v12, vcc
	v_cndmask_b32_e64 v17, v22, v20, s[0:1]
	v_cmp_ne_u32_e32 vcc, 0, v12
	v_cndmask_b32_e64 v13, v21, v19, s[0:1]
	v_cndmask_b32_e32 v12, v15, v17, vcc
	v_cndmask_b32_e32 v13, v14, v13, vcc
	v_xor_b32_e32 v14, v12, v3
	v_xor_b32_e32 v12, v13, v3
	v_sub_co_u32_e32 v12, vcc, v12, v3
	v_subb_co_u32_e32 v13, vcc, v14, v3, vcc
                                        ; implicit-def: $vgpr14_vgpr15
.LBB8_9:                                ;   in Loop: Header=BB8_2 Depth=1
	s_andn2_saveexec_b64 s[0:1], s[28:29]
	s_cbranch_execz .LBB8_11
; %bb.10:                               ;   in Loop: Header=BB8_2 Depth=1
	v_cvt_f32_u32_e32 v3, s16
	s_sub_i32 s13, 0, s16
	v_rcp_iflag_f32_e32 v3, v3
	v_mul_f32_e32 v3, 0x4f7ffffe, v3
	v_cvt_u32_f32_e32 v3, v3
	v_mul_lo_u32 v12, s13, v3
	v_mul_hi_u32 v12, v3, v12
	v_add_u32_e32 v3, v3, v12
	v_mul_hi_u32 v3, v14, v3
	v_mul_lo_u32 v12, v3, s16
	v_add_u32_e32 v13, 1, v3
	v_sub_u32_e32 v12, v14, v12
	v_subrev_u32_e32 v14, s16, v12
	v_cmp_le_u32_e32 vcc, s16, v12
	v_cndmask_b32_e32 v12, v12, v14, vcc
	v_cndmask_b32_e32 v3, v3, v13, vcc
	v_add_u32_e32 v13, 1, v3
	v_cmp_le_u32_e32 vcc, s16, v12
	v_cndmask_b32_e32 v12, v3, v13, vcc
	v_mov_b32_e32 v13, v2
.LBB8_11:                               ;   in Loop: Header=BB8_2 Depth=1
	s_or_b64 exec, exec, s[0:1]
	v_or_b32_e32 v3, s15, v13
	v_cmp_ne_u64_e32 vcc, 0, v[2:3]
                                        ; implicit-def: $vgpr14_vgpr15
	s_and_saveexec_b64 s[0:1], vcc
	s_xor_b64 s[28:29], exec, s[0:1]
	s_cbranch_execz .LBB8_13
; %bb.12:                               ;   in Loop: Header=BB8_2 Depth=1
	s_ashr_i32 s30, s15, 31
	s_add_u32 s0, s14, s30
	s_mov_b32 s31, s30
	s_addc_u32 s1, s15, s30
	s_xor_b64 s[34:35], s[0:1], s[30:31]
	v_cvt_f32_u32_e32 v3, s34
	v_cvt_f32_u32_e32 v14, s35
	s_sub_u32 s13, 0, s34
	s_subb_u32 s21, 0, s35
	v_mac_f32_e32 v3, 0x4f800000, v14
	v_rcp_f32_e32 v3, v3
	v_mul_f32_e32 v3, 0x5f7ffffc, v3
	v_mul_f32_e32 v14, 0x2f800000, v3
	v_trunc_f32_e32 v14, v14
	v_mac_f32_e32 v3, 0xcf800000, v14
	v_cvt_u32_f32_e32 v14, v14
	v_cvt_u32_f32_e32 v3, v3
	v_readfirstlane_b32 s31, v14
	v_readfirstlane_b32 s0, v3
	s_mul_i32 s1, s13, s31
	s_mul_hi_u32 s38, s13, s0
	s_mul_i32 s37, s21, s0
	s_add_i32 s1, s38, s1
	s_add_i32 s1, s1, s37
	s_mul_i32 s39, s13, s0
	s_mul_i32 s38, s0, s1
	s_mul_hi_u32 s40, s0, s39
	s_mul_hi_u32 s37, s0, s1
	s_add_u32 s38, s40, s38
	s_addc_u32 s37, 0, s37
	s_mul_hi_u32 s41, s31, s39
	s_mul_i32 s39, s31, s39
	s_add_u32 s38, s38, s39
	s_mul_hi_u32 s40, s31, s1
	s_addc_u32 s37, s37, s41
	s_addc_u32 s38, s40, 0
	s_mul_i32 s1, s31, s1
	s_add_u32 s1, s37, s1
	s_addc_u32 s37, 0, s38
	s_add_u32 s38, s0, s1
	s_cselect_b64 s[0:1], -1, 0
	s_cmp_lg_u64 s[0:1], 0
	s_addc_u32 s31, s31, s37
	s_mul_i32 s0, s13, s31
	s_mul_hi_u32 s1, s13, s38
	s_add_i32 s0, s1, s0
	s_mul_i32 s21, s21, s38
	s_add_i32 s0, s0, s21
	s_mul_i32 s13, s13, s38
	s_mul_hi_u32 s21, s31, s13
	s_mul_i32 s37, s31, s13
	s_mul_i32 s40, s38, s0
	s_mul_hi_u32 s13, s38, s13
	s_mul_hi_u32 s39, s38, s0
	s_add_u32 s13, s13, s40
	s_addc_u32 s39, 0, s39
	s_add_u32 s13, s13, s37
	s_mul_hi_u32 s1, s31, s0
	s_addc_u32 s13, s39, s21
	s_addc_u32 s1, s1, 0
	s_mul_i32 s0, s31, s0
	s_add_u32 s0, s13, s0
	s_addc_u32 s13, 0, s1
	s_add_u32 s21, s38, s0
	s_cselect_b64 s[0:1], -1, 0
	v_ashrrev_i32_e32 v3, 31, v13
	s_cmp_lg_u64 s[0:1], 0
	v_add_co_u32_e32 v14, vcc, v12, v3
	s_addc_u32 s13, s31, s13
	v_xor_b32_e32 v19, v14, v3
	v_addc_co_u32_e32 v15, vcc, v13, v3, vcc
	v_mad_u64_u32 v[13:14], s[0:1], v19, s13, 0
	v_mul_hi_u32 v17, v19, s21
	v_xor_b32_e32 v15, v15, v3
	v_xor_b32_e32 v3, s30, v3
	v_add_co_u32_e32 v20, vcc, v17, v13
	v_addc_co_u32_e32 v21, vcc, 0, v14, vcc
	v_mad_u64_u32 v[13:14], s[0:1], v15, s21, 0
	v_mad_u64_u32 v[17:18], s[0:1], v15, s13, 0
	v_add_co_u32_e32 v13, vcc, v20, v13
	v_addc_co_u32_e32 v13, vcc, v21, v14, vcc
	v_addc_co_u32_e32 v14, vcc, 0, v18, vcc
	v_add_co_u32_e32 v17, vcc, v13, v17
	v_addc_co_u32_e32 v13, vcc, 0, v14, vcc
	v_mul_lo_u32 v18, s35, v17
	v_mul_lo_u32 v20, s34, v13
	v_mad_u64_u32 v[13:14], s[0:1], s34, v17, 0
	v_add3_u32 v14, v14, v20, v18
	v_sub_u32_e32 v18, v15, v14
	v_mov_b32_e32 v20, s35
	v_sub_co_u32_e32 v13, vcc, v19, v13
	v_subb_co_u32_e64 v18, s[0:1], v18, v20, vcc
	v_subrev_co_u32_e64 v19, s[0:1], s34, v13
	v_subbrev_co_u32_e64 v18, s[0:1], 0, v18, s[0:1]
	v_cmp_le_u32_e64 s[0:1], s35, v18
	v_subb_co_u32_e32 v14, vcc, v15, v14, vcc
	v_cndmask_b32_e64 v20, 0, -1, s[0:1]
	v_cmp_le_u32_e64 s[0:1], s34, v19
	v_cmp_le_u32_e32 vcc, s35, v14
	v_cndmask_b32_e64 v19, 0, -1, s[0:1]
	v_cmp_eq_u32_e64 s[0:1], s35, v18
	v_cndmask_b32_e64 v15, 0, -1, vcc
	v_cmp_le_u32_e32 vcc, s34, v13
	v_cndmask_b32_e64 v18, v20, v19, s[0:1]
	v_cndmask_b32_e64 v13, 0, -1, vcc
	v_cmp_eq_u32_e32 vcc, s35, v14
	v_add_co_u32_e64 v19, s[0:1], 2, v17
	v_add_co_u32_e64 v20, s[0:1], 1, v17
	v_cndmask_b32_e32 v13, v15, v13, vcc
	v_cmp_ne_u32_e32 vcc, 0, v18
	v_cndmask_b32_e32 v14, v20, v19, vcc
	v_cmp_ne_u32_e32 vcc, 0, v13
	v_cndmask_b32_e32 v13, v17, v14, vcc
	v_xor_b32_e32 v13, v13, v3
	v_sub_co_u32_e32 v14, vcc, v13, v3
.LBB8_13:                               ;   in Loop: Header=BB8_2 Depth=1
	s_andn2_saveexec_b64 s[0:1], s[28:29]
	s_cbranch_execz .LBB8_15
; %bb.14:                               ;   in Loop: Header=BB8_2 Depth=1
	v_cvt_f32_u32_e32 v3, s14
	s_sub_i32 s13, 0, s14
	v_rcp_iflag_f32_e32 v3, v3
	v_mul_f32_e32 v3, 0x4f7ffffe, v3
	v_cvt_u32_f32_e32 v3, v3
	v_mul_lo_u32 v13, s13, v3
	v_mul_hi_u32 v13, v3, v13
	v_add_u32_e32 v3, v3, v13
	v_mul_hi_u32 v3, v12, v3
	v_mul_lo_u32 v13, v3, s14
	v_add_u32_e32 v14, 1, v3
	v_sub_u32_e32 v13, v12, v13
	v_subrev_u32_e32 v15, s14, v13
	v_cmp_le_u32_e32 vcc, s14, v13
	v_cndmask_b32_e32 v13, v13, v15, vcc
	v_cndmask_b32_e32 v3, v3, v14, vcc
	v_add_u32_e32 v14, 1, v3
	v_cmp_le_u32_e32 vcc, s14, v13
	v_cndmask_b32_e32 v14, v3, v14, vcc
.LBB8_15:                               ;   in Loop: Header=BB8_2 Depth=1
	s_or_b64 exec, exec, s[0:1]
	v_lshlrev_b64 v[10:11], 1, v[10:11]
	v_mov_b32_e32 v3, s11
	v_add_co_u32_e32 v10, vcc, s10, v10
	v_addc_co_u32_e32 v11, vcc, v3, v11, vcc
	global_load_ushort v3, v[10:11], off
	v_mul_lo_u32 v11, v14, s14
	v_ashrrev_i32_e32 v10, 31, v14
	v_mul_lo_u32 v17, v10, s14
	v_mul_lo_u32 v13, v14, s15
	v_sub_u32_e32 v10, v12, v11
	v_ashrrev_i32_e32 v11, 31, v10
	v_mad_u64_u32 v[10:11], s[0:1], v14, s14, v[10:11]
	v_add_co_u32_e32 v0, vcc, s33, v0
	v_add3_u32 v12, v17, v11, v13
	v_mul_lo_u32 v13, s3, v10
	v_mad_u64_u32 v[10:11], s[0:1], s2, v10, 0
	v_mul_lo_u32 v12, s2, v12
	v_addc_co_u32_e32 v1, vcc, 0, v1, vcc
	v_mov_b32_e32 v15, s36
	v_add3_u32 v11, v11, v12, v13
	v_cmp_le_i64_e32 vcc, s[8:9], v[0:1]
	v_add_co_u32_e64 v6, s[0:1], 0, v6
	v_lshlrev_b64 v[10:11], 1, v[10:11]
	v_addc_co_u32_e64 v7, s[0:1], v7, v15, s[0:1]
	v_lshlrev_b64 v[8:9], 1, v[8:9]
	s_and_b64 s[0:1], vcc, exec
	v_add_co_u32_e32 v4, vcc, v4, v10
	v_addc_co_u32_e32 v5, vcc, v5, v11, vcc
	s_andn2_b64 s[24:25], s[24:25], exec
	v_add_co_u32_e32 v8, vcc, v4, v8
	s_andn2_b64 s[22:23], s[22:23], exec
	v_addc_co_u32_e32 v9, vcc, v5, v9, vcc
	s_or_b64 s[24:25], s[24:25], s[0:1]
	s_waitcnt vmcnt(0)
	global_store_short v[8:9], v3, off
.LBB8_16:                               ;   in Loop: Header=BB8_2 Depth=1
	s_or_b64 exec, exec, s[26:27]
	s_and_b64 s[0:1], exec, s[24:25]
	s_or_b64 s[4:5], s[0:1], s[4:5]
	s_andn2_b64 s[0:1], s[6:7], exec
	s_and_b64 s[6:7], s[22:23], exec
	s_or_b64 s[6:7], s[0:1], s[6:7]
	s_andn2_b64 exec, exec, s[4:5]
	s_cbranch_execnz .LBB8_2
; %bb.17:
	s_or_b64 exec, exec, s[4:5]
	s_and_saveexec_b64 s[0:1], s[6:7]
	s_xor_b64 s[0:1], exec, s[0:1]
	s_cbranch_execnz .LBB8_19
.LBB8_18:
	s_endpgm
.LBB8_19:
	s_trap 2
	; divergent unreachable
	s_endpgm
	.section	.rodata,"a",@progbits
	.p2align	6, 0x0
	.amdhsa_kernel _ZN2at6native30max_unpooling2d_forward_kernelIN3c108BFloat16EEEvlPKT_PKllllllPS4_
		.amdhsa_group_segment_fixed_size 0
		.amdhsa_private_segment_fixed_size 0
		.amdhsa_kernarg_size 328
		.amdhsa_user_sgpr_count 6
		.amdhsa_user_sgpr_private_segment_buffer 1
		.amdhsa_user_sgpr_dispatch_ptr 0
		.amdhsa_user_sgpr_queue_ptr 0
		.amdhsa_user_sgpr_kernarg_segment_ptr 1
		.amdhsa_user_sgpr_dispatch_id 0
		.amdhsa_user_sgpr_flat_scratch_init 0
		.amdhsa_user_sgpr_private_segment_size 0
		.amdhsa_uses_dynamic_stack 0
		.amdhsa_system_sgpr_private_segment_wavefront_offset 0
		.amdhsa_system_sgpr_workgroup_id_x 1
		.amdhsa_system_sgpr_workgroup_id_y 0
		.amdhsa_system_sgpr_workgroup_id_z 0
		.amdhsa_system_sgpr_workgroup_info 0
		.amdhsa_system_vgpr_workitem_id 0
		.amdhsa_next_free_vgpr 23
		.amdhsa_next_free_sgpr 42
		.amdhsa_reserve_vcc 1
		.amdhsa_reserve_flat_scratch 0
		.amdhsa_float_round_mode_32 0
		.amdhsa_float_round_mode_16_64 0
		.amdhsa_float_denorm_mode_32 3
		.amdhsa_float_denorm_mode_16_64 3
		.amdhsa_dx10_clamp 1
		.amdhsa_ieee_mode 1
		.amdhsa_fp16_overflow 0
		.amdhsa_exception_fp_ieee_invalid_op 0
		.amdhsa_exception_fp_denorm_src 0
		.amdhsa_exception_fp_ieee_div_zero 0
		.amdhsa_exception_fp_ieee_overflow 0
		.amdhsa_exception_fp_ieee_underflow 0
		.amdhsa_exception_fp_ieee_inexact 0
		.amdhsa_exception_int_div_zero 0
	.end_amdhsa_kernel
	.section	.text._ZN2at6native30max_unpooling2d_forward_kernelIN3c108BFloat16EEEvlPKT_PKllllllPS4_,"axG",@progbits,_ZN2at6native30max_unpooling2d_forward_kernelIN3c108BFloat16EEEvlPKT_PKllllllPS4_,comdat
.Lfunc_end8:
	.size	_ZN2at6native30max_unpooling2d_forward_kernelIN3c108BFloat16EEEvlPKT_PKllllllPS4_, .Lfunc_end8-_ZN2at6native30max_unpooling2d_forward_kernelIN3c108BFloat16EEEvlPKT_PKllllllPS4_
                                        ; -- End function
	.set _ZN2at6native30max_unpooling2d_forward_kernelIN3c108BFloat16EEEvlPKT_PKllllllPS4_.num_vgpr, 23
	.set _ZN2at6native30max_unpooling2d_forward_kernelIN3c108BFloat16EEEvlPKT_PKllllllPS4_.num_agpr, 0
	.set _ZN2at6native30max_unpooling2d_forward_kernelIN3c108BFloat16EEEvlPKT_PKllllllPS4_.numbered_sgpr, 42
	.set _ZN2at6native30max_unpooling2d_forward_kernelIN3c108BFloat16EEEvlPKT_PKllllllPS4_.num_named_barrier, 0
	.set _ZN2at6native30max_unpooling2d_forward_kernelIN3c108BFloat16EEEvlPKT_PKllllllPS4_.private_seg_size, 0
	.set _ZN2at6native30max_unpooling2d_forward_kernelIN3c108BFloat16EEEvlPKT_PKllllllPS4_.uses_vcc, 1
	.set _ZN2at6native30max_unpooling2d_forward_kernelIN3c108BFloat16EEEvlPKT_PKllllllPS4_.uses_flat_scratch, 0
	.set _ZN2at6native30max_unpooling2d_forward_kernelIN3c108BFloat16EEEvlPKT_PKllllllPS4_.has_dyn_sized_stack, 0
	.set _ZN2at6native30max_unpooling2d_forward_kernelIN3c108BFloat16EEEvlPKT_PKllllllPS4_.has_recursion, 0
	.set _ZN2at6native30max_unpooling2d_forward_kernelIN3c108BFloat16EEEvlPKT_PKllllllPS4_.has_indirect_call, 0
	.section	.AMDGPU.csdata,"",@progbits
; Kernel info:
; codeLenInByte = 2648
; TotalNumSgprs: 46
; NumVgprs: 23
; ScratchSize: 0
; MemoryBound: 0
; FloatMode: 240
; IeeeMode: 1
; LDSByteSize: 0 bytes/workgroup (compile time only)
; SGPRBlocks: 5
; VGPRBlocks: 5
; NumSGPRsForWavesPerEU: 46
; NumVGPRsForWavesPerEU: 23
; Occupancy: 10
; WaveLimiterHint : 1
; COMPUTE_PGM_RSRC2:SCRATCH_EN: 0
; COMPUTE_PGM_RSRC2:USER_SGPR: 6
; COMPUTE_PGM_RSRC2:TRAP_HANDLER: 0
; COMPUTE_PGM_RSRC2:TGID_X_EN: 1
; COMPUTE_PGM_RSRC2:TGID_Y_EN: 0
; COMPUTE_PGM_RSRC2:TGID_Z_EN: 0
; COMPUTE_PGM_RSRC2:TIDIG_COMP_CNT: 0
	.section	.text._ZN2at6native30max_unpooling3d_forward_kernelIhEEvN5torch10headeronly6detail27GenericPackedTensorAccessorINS4_14TensorAccessorIN3c108ArrayRefIlEEKT_Lm3ENS3_16DefaultPtrTraitsElEENS_6detail16IndexBoundsCheckILm4ElEESB_Lm4ESC_lEENS5_INS6_IS9_KlLm3ESC_lEESG_SI_Lm4ESC_lEEPSA_llll,"axG",@progbits,_ZN2at6native30max_unpooling3d_forward_kernelIhEEvN5torch10headeronly6detail27GenericPackedTensorAccessorINS4_14TensorAccessorIN3c108ArrayRefIlEEKT_Lm3ENS3_16DefaultPtrTraitsElEENS_6detail16IndexBoundsCheckILm4ElEESB_Lm4ESC_lEENS5_INS6_IS9_KlLm3ESC_lEESG_SI_Lm4ESC_lEEPSA_llll,comdat
	.protected	_ZN2at6native30max_unpooling3d_forward_kernelIhEEvN5torch10headeronly6detail27GenericPackedTensorAccessorINS4_14TensorAccessorIN3c108ArrayRefIlEEKT_Lm3ENS3_16DefaultPtrTraitsElEENS_6detail16IndexBoundsCheckILm4ElEESB_Lm4ESC_lEENS5_INS6_IS9_KlLm3ESC_lEESG_SI_Lm4ESC_lEEPSA_llll ; -- Begin function _ZN2at6native30max_unpooling3d_forward_kernelIhEEvN5torch10headeronly6detail27GenericPackedTensorAccessorINS4_14TensorAccessorIN3c108ArrayRefIlEEKT_Lm3ENS3_16DefaultPtrTraitsElEENS_6detail16IndexBoundsCheckILm4ElEESB_Lm4ESC_lEENS5_INS6_IS9_KlLm3ESC_lEESG_SI_Lm4ESC_lEEPSA_llll
	.globl	_ZN2at6native30max_unpooling3d_forward_kernelIhEEvN5torch10headeronly6detail27GenericPackedTensorAccessorINS4_14TensorAccessorIN3c108ArrayRefIlEEKT_Lm3ENS3_16DefaultPtrTraitsElEENS_6detail16IndexBoundsCheckILm4ElEESB_Lm4ESC_lEENS5_INS6_IS9_KlLm3ESC_lEESG_SI_Lm4ESC_lEEPSA_llll
	.p2align	8
	.type	_ZN2at6native30max_unpooling3d_forward_kernelIhEEvN5torch10headeronly6detail27GenericPackedTensorAccessorINS4_14TensorAccessorIN3c108ArrayRefIlEEKT_Lm3ENS3_16DefaultPtrTraitsElEENS_6detail16IndexBoundsCheckILm4ElEESB_Lm4ESC_lEENS5_INS6_IS9_KlLm3ESC_lEESG_SI_Lm4ESC_lEEPSA_llll,@function
_ZN2at6native30max_unpooling3d_forward_kernelIhEEvN5torch10headeronly6detail27GenericPackedTensorAccessorINS4_14TensorAccessorIN3c108ArrayRefIlEEKT_Lm3ENS3_16DefaultPtrTraitsElEENS_6detail16IndexBoundsCheckILm4ElEESB_Lm4ESC_lEENS5_INS6_IS9_KlLm3ESC_lEESG_SI_Lm4ESC_lEEPSA_llll: ; @_ZN2at6native30max_unpooling3d_forward_kernelIhEEvN5torch10headeronly6detail27GenericPackedTensorAccessorINS4_14TensorAccessorIN3c108ArrayRefIlEEKT_Lm3ENS3_16DefaultPtrTraitsElEENS_6detail16IndexBoundsCheckILm4ElEESB_Lm4ESC_lEENS5_INS6_IS9_KlLm3ESC_lEESG_SI_Lm4ESC_lEEPSA_llll
; %bb.0:
	s_load_dwordx2 s[0:1], s[4:5], 0xb0
	s_load_dwordx2 s[24:25], s[4:5], 0x10
	s_mov_b32 s10, 0
	v_mov_b32_e32 v2, v1
	s_waitcnt lgkmcnt(0)
	s_add_u32 s2, s0, s8
	s_addc_u32 s3, s1, 0
	s_or_b64 s[0:1], s[2:3], s[24:25]
	s_mov_b32 s11, s1
	s_cmp_lg_u64 s[10:11], 0
	s_cbranch_scc0 .LBB9_8
; %bb.1:
	s_ashr_i32 s8, s25, 31
	s_add_u32 s0, s24, s8
	s_mov_b32 s9, s8
	s_addc_u32 s1, s25, s8
	s_xor_b64 s[10:11], s[0:1], s[8:9]
	v_cvt_f32_u32_e32 v1, s10
	v_cvt_f32_u32_e32 v3, s11
	s_sub_u32 s14, 0, s10
	s_subb_u32 s15, 0, s11
	v_madmk_f32 v1, v3, 0x4f800000, v1
	v_rcp_f32_e32 v1, v1
	v_mul_f32_e32 v1, 0x5f7ffffc, v1
	v_mul_f32_e32 v3, 0x2f800000, v1
	v_trunc_f32_e32 v3, v3
	v_madmk_f32 v1, v3, 0xcf800000, v1
	v_cvt_u32_f32_e32 v3, v3
	v_cvt_u32_f32_e32 v1, v1
	v_readfirstlane_b32 s16, v3
	v_readfirstlane_b32 s12, v1
	s_mul_i32 s13, s14, s16
	s_mul_hi_u32 s18, s14, s12
	s_mul_i32 s17, s15, s12
	s_add_i32 s13, s18, s13
	s_add_i32 s13, s13, s17
	s_mul_i32 s19, s14, s12
	s_mul_i32 s18, s12, s13
	s_mul_hi_u32 s20, s12, s19
	s_mul_hi_u32 s17, s12, s13
	s_add_u32 s18, s20, s18
	s_addc_u32 s17, 0, s17
	s_mul_hi_u32 s21, s16, s19
	s_mul_i32 s19, s16, s19
	s_add_u32 s18, s18, s19
	s_mul_hi_u32 s20, s16, s13
	s_addc_u32 s17, s17, s21
	s_addc_u32 s18, s20, 0
	s_mul_i32 s13, s16, s13
	s_add_u32 s13, s17, s13
	s_addc_u32 s17, 0, s18
	s_add_u32 s18, s12, s13
	s_cselect_b64 s[12:13], -1, 0
	s_cmp_lg_u64 s[12:13], 0
	s_addc_u32 s16, s16, s17
	s_mul_i32 s12, s14, s16
	s_mul_hi_u32 s13, s14, s18
	s_add_i32 s12, s13, s12
	s_mul_i32 s15, s15, s18
	s_add_i32 s12, s12, s15
	s_mul_i32 s14, s14, s18
	s_mul_hi_u32 s15, s16, s14
	s_mul_i32 s17, s16, s14
	s_mul_i32 s20, s18, s12
	s_mul_hi_u32 s14, s18, s14
	s_mul_hi_u32 s19, s18, s12
	s_add_u32 s14, s14, s20
	s_addc_u32 s19, 0, s19
	s_add_u32 s14, s14, s17
	s_mul_hi_u32 s13, s16, s12
	s_addc_u32 s14, s19, s15
	s_addc_u32 s13, s13, 0
	s_mul_i32 s12, s16, s12
	s_add_u32 s12, s14, s12
	s_addc_u32 s14, 0, s13
	s_add_u32 s17, s18, s12
	s_cselect_b64 s[12:13], -1, 0
	s_cmp_lg_u64 s[12:13], 0
	s_addc_u32 s16, s16, s14
	s_ashr_i32 s12, s3, 31
	s_add_u32 s14, s2, s12
	s_mov_b32 s13, s12
	s_addc_u32 s15, s3, s12
	s_xor_b64 s[14:15], s[14:15], s[12:13]
	s_mul_i32 s19, s14, s16
	s_mul_hi_u32 s20, s14, s17
	s_mul_hi_u32 s18, s14, s16
	s_add_u32 s19, s20, s19
	s_addc_u32 s18, 0, s18
	s_mul_hi_u32 s21, s15, s17
	s_mul_i32 s17, s15, s17
	s_add_u32 s17, s19, s17
	s_mul_hi_u32 s20, s15, s16
	s_addc_u32 s17, s18, s21
	s_addc_u32 s18, s20, 0
	s_mul_i32 s16, s15, s16
	s_add_u32 s20, s17, s16
	s_addc_u32 s21, 0, s18
	s_mul_i32 s16, s10, s21
	s_mul_hi_u32 s17, s10, s20
	s_add_i32 s16, s17, s16
	s_mul_i32 s17, s11, s20
	s_add_i32 s22, s16, s17
	s_sub_i32 s18, s15, s22
	s_mul_i32 s16, s10, s20
	s_sub_u32 s14, s14, s16
	s_cselect_b64 s[16:17], -1, 0
	s_cmp_lg_u64 s[16:17], 0
	s_subb_u32 s23, s18, s11
	s_sub_u32 s26, s14, s10
	s_cselect_b64 s[18:19], -1, 0
	s_cmp_lg_u64 s[18:19], 0
	s_subb_u32 s18, s23, 0
	s_cmp_ge_u32 s18, s11
	s_cselect_b32 s19, -1, 0
	s_cmp_ge_u32 s26, s10
	s_cselect_b32 s23, -1, 0
	s_cmp_eq_u32 s18, s11
	s_cselect_b32 s18, s23, s19
	s_add_u32 s19, s20, 1
	s_addc_u32 s23, s21, 0
	s_add_u32 s26, s20, 2
	s_addc_u32 s27, s21, 0
	s_cmp_lg_u32 s18, 0
	s_cselect_b32 s18, s26, s19
	s_cselect_b32 s19, s27, s23
	s_cmp_lg_u64 s[16:17], 0
	s_subb_u32 s15, s15, s22
	s_cmp_ge_u32 s15, s11
	s_cselect_b32 s16, -1, 0
	s_cmp_ge_u32 s14, s10
	s_cselect_b32 s10, -1, 0
	s_cmp_eq_u32 s15, s11
	s_cselect_b32 s10, s10, s16
	s_cmp_lg_u32 s10, 0
	s_cselect_b32 s11, s19, s21
	s_cselect_b32 s10, s18, s20
	s_xor_b64 s[8:9], s[12:13], s[8:9]
	s_xor_b64 s[10:11], s[10:11], s[8:9]
	s_sub_u32 s26, s10, s8
	s_subb_u32 s27, s11, s9
	s_load_dword s8, s[4:5], 0xc4
	s_cbranch_execnz .LBB9_3
.LBB9_2:
	v_cvt_f32_u32_e32 v1, s24
	s_sub_i32 s0, 0, s24
	s_mov_b32 s27, 0
	v_rcp_iflag_f32_e32 v1, v1
	v_mul_f32_e32 v1, 0x4f7ffffe, v1
	v_cvt_u32_f32_e32 v1, v1
	v_readfirstlane_b32 s1, v1
	s_mul_i32 s0, s0, s1
	s_mul_hi_u32 s0, s1, s0
	s_add_i32 s1, s1, s0
	s_mul_hi_u32 s0, s2, s1
	s_mul_i32 s9, s0, s24
	s_sub_i32 s9, s2, s9
	s_add_i32 s1, s0, 1
	s_sub_i32 s10, s9, s24
	s_cmp_ge_u32 s9, s24
	s_cselect_b32 s0, s1, s0
	s_cselect_b32 s9, s10, s9
	s_add_i32 s1, s0, 1
	s_cmp_ge_u32 s9, s24
	s_cselect_b32 s26, s1, s0
.LBB9_3:
	s_waitcnt lgkmcnt(0)
	s_lshr_b32 s12, s8, 16
	v_mov_b32_e32 v1, 0
	s_and_b32 s0, s8, 0xffff
	v_mov_b32_e32 v3, s6
	s_load_dwordx4 s[8:11], s[4:5], 0x18
	v_mad_u64_u32 v[3:4], s[0:1], s0, v3, v[0:1]
	s_mul_i32 s7, s7, s12
	v_add_u32_e32 v0, s7, v2
	s_waitcnt lgkmcnt(0)
	v_cmp_gt_i64_e32 vcc, s[8:9], v[0:1]
	v_cmp_gt_i64_e64 s[0:1], s[10:11], v[3:4]
	s_and_b64 s[0:1], vcc, s[0:1]
	s_and_saveexec_b64 s[6:7], s[0:1]
	s_cbranch_execz .LBB9_7
; %bb.4:
	s_load_dwordx8 s[8:15], s[4:5], 0x90
	s_load_dwordx8 s[16:23], s[4:5], 0x70
	s_waitcnt lgkmcnt(0)
	s_mul_i32 s0, s12, s11
	s_mul_hi_u32 s1, s12, s10
	s_mul_i32 s6, s13, s10
	s_mul_i32 s12, s12, s10
	s_add_i32 s0, s1, s0
	s_mul_i32 s1, s12, s15
	s_add_i32 s0, s0, s6
	s_mul_hi_u32 s6, s12, s14
	s_add_i32 s1, s6, s1
	s_mul_i32 s0, s0, s14
	s_add_i32 s7, s1, s0
	s_mul_i32 s0, s26, s25
	s_mul_hi_u32 s1, s26, s24
	s_add_i32 s0, s1, s0
	s_mul_i32 s1, s27, s24
	s_add_i32 s0, s0, s1
	s_mul_i32 s1, s26, s24
	s_sub_u32 s2, s2, s1
	s_subb_u32 s3, s3, s0
	s_load_dwordx2 s[0:1], s[4:5], 0x48
	s_mul_i32 s6, s16, s27
	s_mul_hi_u32 s10, s16, s26
	s_add_i32 s6, s10, s6
	s_mul_i32 s10, s17, s26
	s_add_i32 s11, s6, s10
	s_mul_i32 s10, s16, s26
	s_lshl_b64 s[10:11], s[10:11], 3
	s_waitcnt lgkmcnt(0)
	s_add_u32 s6, s0, s10
	s_addc_u32 s13, s1, s11
	s_mul_i32 s0, s18, s3
	s_mul_hi_u32 s1, s18, s2
	s_add_i32 s10, s1, s0
	v_mad_u64_u32 v[1:2], s[0:1], s20, v0, 0
	s_mul_i32 s0, s19, s2
	s_add_i32 s1, s10, s0
	s_mul_i32 s0, s18, s2
	v_mad_u64_u32 v[5:6], s[10:11], s21, v0, v[2:3]
	s_lshl_b64 s[0:1], s[0:1], 3
	s_add_u32 s6, s6, s0
	s_addc_u32 s0, s13, s1
	v_mov_b32_e32 v2, v5
	v_mov_b32_e32 v7, s0
	v_mul_lo_u32 v8, s23, v3
	v_mul_lo_u32 v9, s22, v4
	v_mad_u64_u32 v[5:6], s[0:1], s22, v3, 0
	v_lshlrev_b64 v[1:2], 3, v[1:2]
	v_add_co_u32_e32 v10, vcc, s6, v1
	v_add3_u32 v6, v6, v9, v8
	v_addc_co_u32_e32 v7, vcc, v7, v2, vcc
	v_lshlrev_b64 v[1:2], 3, v[5:6]
	s_mul_i32 s6, s12, s14
	v_add_co_u32_e32 v1, vcc, v10, v1
	v_addc_co_u32_e32 v2, vcc, v7, v2, vcc
	global_load_dwordx2 v[1:2], v[1:2], off
	s_waitcnt vmcnt(0)
	v_cmp_lt_i64_e32 vcc, -1, v[1:2]
	v_cmp_gt_i64_e64 s[0:1], s[6:7], v[1:2]
	s_and_b64 s[0:1], vcc, s[0:1]
	s_and_saveexec_b64 s[10:11], s[0:1]
	s_xor_b64 s[0:1], exec, s[10:11]
	s_cbranch_execz .LBB9_6
; %bb.5:
	s_load_dwordx8 s[12:19], s[4:5], 0x28
	s_load_dwordx2 s[10:11], s[4:5], 0x0
	s_waitcnt lgkmcnt(0)
	s_mul_i32 s4, s12, s27
	s_mul_hi_u32 s5, s12, s26
	s_mul_i32 s13, s13, s26
	s_add_i32 s4, s5, s4
	s_mul_i32 s12, s12, s26
	s_add_i32 s4, s4, s13
	s_add_u32 s5, s10, s12
	s_mul_i32 s3, s14, s3
	s_mul_hi_u32 s10, s14, s2
	s_addc_u32 s4, s11, s4
	s_add_i32 s3, s10, s3
	s_mul_i32 s10, s15, s2
	s_add_i32 s3, s3, s10
	s_mul_i32 s2, s14, s2
	s_add_u32 s2, s5, s2
	s_addc_u32 s3, s4, s3
	v_mov_b32_e32 v6, s3
	v_mov_b32_e32 v5, s2
	v_mad_u64_u32 v[5:6], s[2:3], s16, v0, v[5:6]
	v_mad_u64_u32 v[6:7], s[2:3], s17, v0, v[6:7]
	v_mul_lo_u32 v0, s18, v4
	v_mad_u64_u32 v[5:6], s[2:3], s18, v3, v[5:6]
	v_mul_lo_u32 v3, s19, v3
	s_mul_i32 s2, s6, s27
	s_mul_hi_u32 s3, s6, s26
	s_add_i32 s2, s3, s2
	v_add3_u32 v6, v3, v6, v0
	global_load_ubyte v3, v[5:6], off
	s_mul_i32 s3, s7, s26
	s_add_i32 s2, s2, s3
	s_mul_i32 s3, s6, s26
	s_add_u32 s3, s8, s3
	s_addc_u32 s2, s9, s2
	v_mov_b32_e32 v4, s2
	v_add_co_u32_e32 v0, vcc, s3, v1
	v_addc_co_u32_e32 v1, vcc, v4, v2, vcc
	s_waitcnt vmcnt(0)
	global_store_byte v[0:1], v3, off
.LBB9_6:
	s_andn2_saveexec_b64 s[0:1], s[0:1]
	s_cbranch_execnz .LBB9_9
.LBB9_7:
	s_endpgm
.LBB9_8:
                                        ; implicit-def: $sgpr26_sgpr27
	s_load_dword s8, s[4:5], 0xc4
	s_branch .LBB9_2
.LBB9_9:
	s_trap 2
	; divergent unreachable
	s_endpgm
	.section	.rodata,"a",@progbits
	.p2align	6, 0x0
	.amdhsa_kernel _ZN2at6native30max_unpooling3d_forward_kernelIhEEvN5torch10headeronly6detail27GenericPackedTensorAccessorINS4_14TensorAccessorIN3c108ArrayRefIlEEKT_Lm3ENS3_16DefaultPtrTraitsElEENS_6detail16IndexBoundsCheckILm4ElEESB_Lm4ESC_lEENS5_INS6_IS9_KlLm3ESC_lEESG_SI_Lm4ESC_lEEPSA_llll
		.amdhsa_group_segment_fixed_size 0
		.amdhsa_private_segment_fixed_size 0
		.amdhsa_kernarg_size 440
		.amdhsa_user_sgpr_count 6
		.amdhsa_user_sgpr_private_segment_buffer 1
		.amdhsa_user_sgpr_dispatch_ptr 0
		.amdhsa_user_sgpr_queue_ptr 0
		.amdhsa_user_sgpr_kernarg_segment_ptr 1
		.amdhsa_user_sgpr_dispatch_id 0
		.amdhsa_user_sgpr_flat_scratch_init 0
		.amdhsa_user_sgpr_private_segment_size 0
		.amdhsa_uses_dynamic_stack 0
		.amdhsa_system_sgpr_private_segment_wavefront_offset 0
		.amdhsa_system_sgpr_workgroup_id_x 1
		.amdhsa_system_sgpr_workgroup_id_y 1
		.amdhsa_system_sgpr_workgroup_id_z 1
		.amdhsa_system_sgpr_workgroup_info 0
		.amdhsa_system_vgpr_workitem_id 1
		.amdhsa_next_free_vgpr 11
		.amdhsa_next_free_sgpr 28
		.amdhsa_reserve_vcc 1
		.amdhsa_reserve_flat_scratch 0
		.amdhsa_float_round_mode_32 0
		.amdhsa_float_round_mode_16_64 0
		.amdhsa_float_denorm_mode_32 3
		.amdhsa_float_denorm_mode_16_64 3
		.amdhsa_dx10_clamp 1
		.amdhsa_ieee_mode 1
		.amdhsa_fp16_overflow 0
		.amdhsa_exception_fp_ieee_invalid_op 0
		.amdhsa_exception_fp_denorm_src 0
		.amdhsa_exception_fp_ieee_div_zero 0
		.amdhsa_exception_fp_ieee_overflow 0
		.amdhsa_exception_fp_ieee_underflow 0
		.amdhsa_exception_fp_ieee_inexact 0
		.amdhsa_exception_int_div_zero 0
	.end_amdhsa_kernel
	.section	.text._ZN2at6native30max_unpooling3d_forward_kernelIhEEvN5torch10headeronly6detail27GenericPackedTensorAccessorINS4_14TensorAccessorIN3c108ArrayRefIlEEKT_Lm3ENS3_16DefaultPtrTraitsElEENS_6detail16IndexBoundsCheckILm4ElEESB_Lm4ESC_lEENS5_INS6_IS9_KlLm3ESC_lEESG_SI_Lm4ESC_lEEPSA_llll,"axG",@progbits,_ZN2at6native30max_unpooling3d_forward_kernelIhEEvN5torch10headeronly6detail27GenericPackedTensorAccessorINS4_14TensorAccessorIN3c108ArrayRefIlEEKT_Lm3ENS3_16DefaultPtrTraitsElEENS_6detail16IndexBoundsCheckILm4ElEESB_Lm4ESC_lEENS5_INS6_IS9_KlLm3ESC_lEESG_SI_Lm4ESC_lEEPSA_llll,comdat
.Lfunc_end9:
	.size	_ZN2at6native30max_unpooling3d_forward_kernelIhEEvN5torch10headeronly6detail27GenericPackedTensorAccessorINS4_14TensorAccessorIN3c108ArrayRefIlEEKT_Lm3ENS3_16DefaultPtrTraitsElEENS_6detail16IndexBoundsCheckILm4ElEESB_Lm4ESC_lEENS5_INS6_IS9_KlLm3ESC_lEESG_SI_Lm4ESC_lEEPSA_llll, .Lfunc_end9-_ZN2at6native30max_unpooling3d_forward_kernelIhEEvN5torch10headeronly6detail27GenericPackedTensorAccessorINS4_14TensorAccessorIN3c108ArrayRefIlEEKT_Lm3ENS3_16DefaultPtrTraitsElEENS_6detail16IndexBoundsCheckILm4ElEESB_Lm4ESC_lEENS5_INS6_IS9_KlLm3ESC_lEESG_SI_Lm4ESC_lEEPSA_llll
                                        ; -- End function
	.set _ZN2at6native30max_unpooling3d_forward_kernelIhEEvN5torch10headeronly6detail27GenericPackedTensorAccessorINS4_14TensorAccessorIN3c108ArrayRefIlEEKT_Lm3ENS3_16DefaultPtrTraitsElEENS_6detail16IndexBoundsCheckILm4ElEESB_Lm4ESC_lEENS5_INS6_IS9_KlLm3ESC_lEESG_SI_Lm4ESC_lEEPSA_llll.num_vgpr, 11
	.set _ZN2at6native30max_unpooling3d_forward_kernelIhEEvN5torch10headeronly6detail27GenericPackedTensorAccessorINS4_14TensorAccessorIN3c108ArrayRefIlEEKT_Lm3ENS3_16DefaultPtrTraitsElEENS_6detail16IndexBoundsCheckILm4ElEESB_Lm4ESC_lEENS5_INS6_IS9_KlLm3ESC_lEESG_SI_Lm4ESC_lEEPSA_llll.num_agpr, 0
	.set _ZN2at6native30max_unpooling3d_forward_kernelIhEEvN5torch10headeronly6detail27GenericPackedTensorAccessorINS4_14TensorAccessorIN3c108ArrayRefIlEEKT_Lm3ENS3_16DefaultPtrTraitsElEENS_6detail16IndexBoundsCheckILm4ElEESB_Lm4ESC_lEENS5_INS6_IS9_KlLm3ESC_lEESG_SI_Lm4ESC_lEEPSA_llll.numbered_sgpr, 28
	.set _ZN2at6native30max_unpooling3d_forward_kernelIhEEvN5torch10headeronly6detail27GenericPackedTensorAccessorINS4_14TensorAccessorIN3c108ArrayRefIlEEKT_Lm3ENS3_16DefaultPtrTraitsElEENS_6detail16IndexBoundsCheckILm4ElEESB_Lm4ESC_lEENS5_INS6_IS9_KlLm3ESC_lEESG_SI_Lm4ESC_lEEPSA_llll.num_named_barrier, 0
	.set _ZN2at6native30max_unpooling3d_forward_kernelIhEEvN5torch10headeronly6detail27GenericPackedTensorAccessorINS4_14TensorAccessorIN3c108ArrayRefIlEEKT_Lm3ENS3_16DefaultPtrTraitsElEENS_6detail16IndexBoundsCheckILm4ElEESB_Lm4ESC_lEENS5_INS6_IS9_KlLm3ESC_lEESG_SI_Lm4ESC_lEEPSA_llll.private_seg_size, 0
	.set _ZN2at6native30max_unpooling3d_forward_kernelIhEEvN5torch10headeronly6detail27GenericPackedTensorAccessorINS4_14TensorAccessorIN3c108ArrayRefIlEEKT_Lm3ENS3_16DefaultPtrTraitsElEENS_6detail16IndexBoundsCheckILm4ElEESB_Lm4ESC_lEENS5_INS6_IS9_KlLm3ESC_lEESG_SI_Lm4ESC_lEEPSA_llll.uses_vcc, 1
	.set _ZN2at6native30max_unpooling3d_forward_kernelIhEEvN5torch10headeronly6detail27GenericPackedTensorAccessorINS4_14TensorAccessorIN3c108ArrayRefIlEEKT_Lm3ENS3_16DefaultPtrTraitsElEENS_6detail16IndexBoundsCheckILm4ElEESB_Lm4ESC_lEENS5_INS6_IS9_KlLm3ESC_lEESG_SI_Lm4ESC_lEEPSA_llll.uses_flat_scratch, 0
	.set _ZN2at6native30max_unpooling3d_forward_kernelIhEEvN5torch10headeronly6detail27GenericPackedTensorAccessorINS4_14TensorAccessorIN3c108ArrayRefIlEEKT_Lm3ENS3_16DefaultPtrTraitsElEENS_6detail16IndexBoundsCheckILm4ElEESB_Lm4ESC_lEENS5_INS6_IS9_KlLm3ESC_lEESG_SI_Lm4ESC_lEEPSA_llll.has_dyn_sized_stack, 0
	.set _ZN2at6native30max_unpooling3d_forward_kernelIhEEvN5torch10headeronly6detail27GenericPackedTensorAccessorINS4_14TensorAccessorIN3c108ArrayRefIlEEKT_Lm3ENS3_16DefaultPtrTraitsElEENS_6detail16IndexBoundsCheckILm4ElEESB_Lm4ESC_lEENS5_INS6_IS9_KlLm3ESC_lEESG_SI_Lm4ESC_lEEPSA_llll.has_recursion, 0
	.set _ZN2at6native30max_unpooling3d_forward_kernelIhEEvN5torch10headeronly6detail27GenericPackedTensorAccessorINS4_14TensorAccessorIN3c108ArrayRefIlEEKT_Lm3ENS3_16DefaultPtrTraitsElEENS_6detail16IndexBoundsCheckILm4ElEESB_Lm4ESC_lEENS5_INS6_IS9_KlLm3ESC_lEESG_SI_Lm4ESC_lEEPSA_llll.has_indirect_call, 0
	.section	.AMDGPU.csdata,"",@progbits
; Kernel info:
; codeLenInByte = 1316
; TotalNumSgprs: 32
; NumVgprs: 11
; ScratchSize: 0
; MemoryBound: 0
; FloatMode: 240
; IeeeMode: 1
; LDSByteSize: 0 bytes/workgroup (compile time only)
; SGPRBlocks: 3
; VGPRBlocks: 2
; NumSGPRsForWavesPerEU: 32
; NumVGPRsForWavesPerEU: 11
; Occupancy: 10
; WaveLimiterHint : 1
; COMPUTE_PGM_RSRC2:SCRATCH_EN: 0
; COMPUTE_PGM_RSRC2:USER_SGPR: 6
; COMPUTE_PGM_RSRC2:TRAP_HANDLER: 0
; COMPUTE_PGM_RSRC2:TGID_X_EN: 1
; COMPUTE_PGM_RSRC2:TGID_Y_EN: 1
; COMPUTE_PGM_RSRC2:TGID_Z_EN: 1
; COMPUTE_PGM_RSRC2:TIDIG_COMP_CNT: 1
	.section	.text._ZN2at6native30max_unpooling3d_forward_kernelIaEEvN5torch10headeronly6detail27GenericPackedTensorAccessorINS4_14TensorAccessorIN3c108ArrayRefIlEEKT_Lm3ENS3_16DefaultPtrTraitsElEENS_6detail16IndexBoundsCheckILm4ElEESB_Lm4ESC_lEENS5_INS6_IS9_KlLm3ESC_lEESG_SI_Lm4ESC_lEEPSA_llll,"axG",@progbits,_ZN2at6native30max_unpooling3d_forward_kernelIaEEvN5torch10headeronly6detail27GenericPackedTensorAccessorINS4_14TensorAccessorIN3c108ArrayRefIlEEKT_Lm3ENS3_16DefaultPtrTraitsElEENS_6detail16IndexBoundsCheckILm4ElEESB_Lm4ESC_lEENS5_INS6_IS9_KlLm3ESC_lEESG_SI_Lm4ESC_lEEPSA_llll,comdat
	.protected	_ZN2at6native30max_unpooling3d_forward_kernelIaEEvN5torch10headeronly6detail27GenericPackedTensorAccessorINS4_14TensorAccessorIN3c108ArrayRefIlEEKT_Lm3ENS3_16DefaultPtrTraitsElEENS_6detail16IndexBoundsCheckILm4ElEESB_Lm4ESC_lEENS5_INS6_IS9_KlLm3ESC_lEESG_SI_Lm4ESC_lEEPSA_llll ; -- Begin function _ZN2at6native30max_unpooling3d_forward_kernelIaEEvN5torch10headeronly6detail27GenericPackedTensorAccessorINS4_14TensorAccessorIN3c108ArrayRefIlEEKT_Lm3ENS3_16DefaultPtrTraitsElEENS_6detail16IndexBoundsCheckILm4ElEESB_Lm4ESC_lEENS5_INS6_IS9_KlLm3ESC_lEESG_SI_Lm4ESC_lEEPSA_llll
	.globl	_ZN2at6native30max_unpooling3d_forward_kernelIaEEvN5torch10headeronly6detail27GenericPackedTensorAccessorINS4_14TensorAccessorIN3c108ArrayRefIlEEKT_Lm3ENS3_16DefaultPtrTraitsElEENS_6detail16IndexBoundsCheckILm4ElEESB_Lm4ESC_lEENS5_INS6_IS9_KlLm3ESC_lEESG_SI_Lm4ESC_lEEPSA_llll
	.p2align	8
	.type	_ZN2at6native30max_unpooling3d_forward_kernelIaEEvN5torch10headeronly6detail27GenericPackedTensorAccessorINS4_14TensorAccessorIN3c108ArrayRefIlEEKT_Lm3ENS3_16DefaultPtrTraitsElEENS_6detail16IndexBoundsCheckILm4ElEESB_Lm4ESC_lEENS5_INS6_IS9_KlLm3ESC_lEESG_SI_Lm4ESC_lEEPSA_llll,@function
_ZN2at6native30max_unpooling3d_forward_kernelIaEEvN5torch10headeronly6detail27GenericPackedTensorAccessorINS4_14TensorAccessorIN3c108ArrayRefIlEEKT_Lm3ENS3_16DefaultPtrTraitsElEENS_6detail16IndexBoundsCheckILm4ElEESB_Lm4ESC_lEENS5_INS6_IS9_KlLm3ESC_lEESG_SI_Lm4ESC_lEEPSA_llll: ; @_ZN2at6native30max_unpooling3d_forward_kernelIaEEvN5torch10headeronly6detail27GenericPackedTensorAccessorINS4_14TensorAccessorIN3c108ArrayRefIlEEKT_Lm3ENS3_16DefaultPtrTraitsElEENS_6detail16IndexBoundsCheckILm4ElEESB_Lm4ESC_lEENS5_INS6_IS9_KlLm3ESC_lEESG_SI_Lm4ESC_lEEPSA_llll
; %bb.0:
	s_load_dwordx2 s[0:1], s[4:5], 0xb0
	s_load_dwordx2 s[24:25], s[4:5], 0x10
	s_mov_b32 s10, 0
	v_mov_b32_e32 v2, v1
	s_waitcnt lgkmcnt(0)
	s_add_u32 s2, s0, s8
	s_addc_u32 s3, s1, 0
	s_or_b64 s[0:1], s[2:3], s[24:25]
	s_mov_b32 s11, s1
	s_cmp_lg_u64 s[10:11], 0
	s_cbranch_scc0 .LBB10_8
; %bb.1:
	s_ashr_i32 s8, s25, 31
	s_add_u32 s0, s24, s8
	s_mov_b32 s9, s8
	s_addc_u32 s1, s25, s8
	s_xor_b64 s[10:11], s[0:1], s[8:9]
	v_cvt_f32_u32_e32 v1, s10
	v_cvt_f32_u32_e32 v3, s11
	s_sub_u32 s14, 0, s10
	s_subb_u32 s15, 0, s11
	v_madmk_f32 v1, v3, 0x4f800000, v1
	v_rcp_f32_e32 v1, v1
	v_mul_f32_e32 v1, 0x5f7ffffc, v1
	v_mul_f32_e32 v3, 0x2f800000, v1
	v_trunc_f32_e32 v3, v3
	v_madmk_f32 v1, v3, 0xcf800000, v1
	v_cvt_u32_f32_e32 v3, v3
	v_cvt_u32_f32_e32 v1, v1
	v_readfirstlane_b32 s16, v3
	v_readfirstlane_b32 s12, v1
	s_mul_i32 s13, s14, s16
	s_mul_hi_u32 s18, s14, s12
	s_mul_i32 s17, s15, s12
	s_add_i32 s13, s18, s13
	s_add_i32 s13, s13, s17
	s_mul_i32 s19, s14, s12
	s_mul_i32 s18, s12, s13
	s_mul_hi_u32 s20, s12, s19
	s_mul_hi_u32 s17, s12, s13
	s_add_u32 s18, s20, s18
	s_addc_u32 s17, 0, s17
	s_mul_hi_u32 s21, s16, s19
	s_mul_i32 s19, s16, s19
	s_add_u32 s18, s18, s19
	s_mul_hi_u32 s20, s16, s13
	s_addc_u32 s17, s17, s21
	s_addc_u32 s18, s20, 0
	s_mul_i32 s13, s16, s13
	s_add_u32 s13, s17, s13
	s_addc_u32 s17, 0, s18
	s_add_u32 s18, s12, s13
	s_cselect_b64 s[12:13], -1, 0
	s_cmp_lg_u64 s[12:13], 0
	s_addc_u32 s16, s16, s17
	s_mul_i32 s12, s14, s16
	s_mul_hi_u32 s13, s14, s18
	s_add_i32 s12, s13, s12
	s_mul_i32 s15, s15, s18
	s_add_i32 s12, s12, s15
	s_mul_i32 s14, s14, s18
	s_mul_hi_u32 s15, s16, s14
	s_mul_i32 s17, s16, s14
	s_mul_i32 s20, s18, s12
	s_mul_hi_u32 s14, s18, s14
	s_mul_hi_u32 s19, s18, s12
	s_add_u32 s14, s14, s20
	s_addc_u32 s19, 0, s19
	s_add_u32 s14, s14, s17
	s_mul_hi_u32 s13, s16, s12
	s_addc_u32 s14, s19, s15
	s_addc_u32 s13, s13, 0
	s_mul_i32 s12, s16, s12
	s_add_u32 s12, s14, s12
	s_addc_u32 s14, 0, s13
	s_add_u32 s17, s18, s12
	s_cselect_b64 s[12:13], -1, 0
	s_cmp_lg_u64 s[12:13], 0
	s_addc_u32 s16, s16, s14
	s_ashr_i32 s12, s3, 31
	s_add_u32 s14, s2, s12
	s_mov_b32 s13, s12
	s_addc_u32 s15, s3, s12
	s_xor_b64 s[14:15], s[14:15], s[12:13]
	s_mul_i32 s19, s14, s16
	s_mul_hi_u32 s20, s14, s17
	s_mul_hi_u32 s18, s14, s16
	s_add_u32 s19, s20, s19
	s_addc_u32 s18, 0, s18
	s_mul_hi_u32 s21, s15, s17
	s_mul_i32 s17, s15, s17
	s_add_u32 s17, s19, s17
	s_mul_hi_u32 s20, s15, s16
	s_addc_u32 s17, s18, s21
	s_addc_u32 s18, s20, 0
	s_mul_i32 s16, s15, s16
	s_add_u32 s20, s17, s16
	s_addc_u32 s21, 0, s18
	s_mul_i32 s16, s10, s21
	s_mul_hi_u32 s17, s10, s20
	s_add_i32 s16, s17, s16
	s_mul_i32 s17, s11, s20
	s_add_i32 s22, s16, s17
	s_sub_i32 s18, s15, s22
	s_mul_i32 s16, s10, s20
	s_sub_u32 s14, s14, s16
	s_cselect_b64 s[16:17], -1, 0
	s_cmp_lg_u64 s[16:17], 0
	s_subb_u32 s23, s18, s11
	s_sub_u32 s26, s14, s10
	s_cselect_b64 s[18:19], -1, 0
	s_cmp_lg_u64 s[18:19], 0
	s_subb_u32 s18, s23, 0
	s_cmp_ge_u32 s18, s11
	s_cselect_b32 s19, -1, 0
	s_cmp_ge_u32 s26, s10
	s_cselect_b32 s23, -1, 0
	s_cmp_eq_u32 s18, s11
	s_cselect_b32 s18, s23, s19
	s_add_u32 s19, s20, 1
	s_addc_u32 s23, s21, 0
	s_add_u32 s26, s20, 2
	s_addc_u32 s27, s21, 0
	s_cmp_lg_u32 s18, 0
	s_cselect_b32 s18, s26, s19
	s_cselect_b32 s19, s27, s23
	s_cmp_lg_u64 s[16:17], 0
	s_subb_u32 s15, s15, s22
	s_cmp_ge_u32 s15, s11
	s_cselect_b32 s16, -1, 0
	s_cmp_ge_u32 s14, s10
	s_cselect_b32 s10, -1, 0
	s_cmp_eq_u32 s15, s11
	s_cselect_b32 s10, s10, s16
	s_cmp_lg_u32 s10, 0
	s_cselect_b32 s11, s19, s21
	s_cselect_b32 s10, s18, s20
	s_xor_b64 s[8:9], s[12:13], s[8:9]
	s_xor_b64 s[10:11], s[10:11], s[8:9]
	s_sub_u32 s26, s10, s8
	s_subb_u32 s27, s11, s9
	s_load_dword s8, s[4:5], 0xc4
	s_cbranch_execnz .LBB10_3
.LBB10_2:
	v_cvt_f32_u32_e32 v1, s24
	s_sub_i32 s0, 0, s24
	s_mov_b32 s27, 0
	v_rcp_iflag_f32_e32 v1, v1
	v_mul_f32_e32 v1, 0x4f7ffffe, v1
	v_cvt_u32_f32_e32 v1, v1
	v_readfirstlane_b32 s1, v1
	s_mul_i32 s0, s0, s1
	s_mul_hi_u32 s0, s1, s0
	s_add_i32 s1, s1, s0
	s_mul_hi_u32 s0, s2, s1
	s_mul_i32 s9, s0, s24
	s_sub_i32 s9, s2, s9
	s_add_i32 s1, s0, 1
	s_sub_i32 s10, s9, s24
	s_cmp_ge_u32 s9, s24
	s_cselect_b32 s0, s1, s0
	s_cselect_b32 s9, s10, s9
	s_add_i32 s1, s0, 1
	s_cmp_ge_u32 s9, s24
	s_cselect_b32 s26, s1, s0
.LBB10_3:
	s_waitcnt lgkmcnt(0)
	s_lshr_b32 s12, s8, 16
	v_mov_b32_e32 v1, 0
	s_and_b32 s0, s8, 0xffff
	v_mov_b32_e32 v3, s6
	s_load_dwordx4 s[8:11], s[4:5], 0x18
	v_mad_u64_u32 v[3:4], s[0:1], s0, v3, v[0:1]
	s_mul_i32 s7, s7, s12
	v_add_u32_e32 v0, s7, v2
	s_waitcnt lgkmcnt(0)
	v_cmp_gt_i64_e32 vcc, s[8:9], v[0:1]
	v_cmp_gt_i64_e64 s[0:1], s[10:11], v[3:4]
	s_and_b64 s[0:1], vcc, s[0:1]
	s_and_saveexec_b64 s[6:7], s[0:1]
	s_cbranch_execz .LBB10_7
; %bb.4:
	s_load_dwordx8 s[8:15], s[4:5], 0x90
	s_load_dwordx8 s[16:23], s[4:5], 0x70
	s_waitcnt lgkmcnt(0)
	s_mul_i32 s0, s12, s11
	s_mul_hi_u32 s1, s12, s10
	s_mul_i32 s6, s13, s10
	s_mul_i32 s12, s12, s10
	s_add_i32 s0, s1, s0
	s_mul_i32 s1, s12, s15
	s_add_i32 s0, s0, s6
	s_mul_hi_u32 s6, s12, s14
	s_add_i32 s1, s6, s1
	s_mul_i32 s0, s0, s14
	s_add_i32 s7, s1, s0
	s_mul_i32 s0, s26, s25
	s_mul_hi_u32 s1, s26, s24
	s_add_i32 s0, s1, s0
	s_mul_i32 s1, s27, s24
	s_add_i32 s0, s0, s1
	s_mul_i32 s1, s26, s24
	s_sub_u32 s2, s2, s1
	s_subb_u32 s3, s3, s0
	s_load_dwordx2 s[0:1], s[4:5], 0x48
	s_mul_i32 s6, s16, s27
	s_mul_hi_u32 s10, s16, s26
	s_add_i32 s6, s10, s6
	s_mul_i32 s10, s17, s26
	s_add_i32 s11, s6, s10
	s_mul_i32 s10, s16, s26
	s_lshl_b64 s[10:11], s[10:11], 3
	s_waitcnt lgkmcnt(0)
	s_add_u32 s6, s0, s10
	s_addc_u32 s13, s1, s11
	s_mul_i32 s0, s18, s3
	s_mul_hi_u32 s1, s18, s2
	s_add_i32 s10, s1, s0
	v_mad_u64_u32 v[1:2], s[0:1], s20, v0, 0
	s_mul_i32 s0, s19, s2
	s_add_i32 s1, s10, s0
	s_mul_i32 s0, s18, s2
	v_mad_u64_u32 v[5:6], s[10:11], s21, v0, v[2:3]
	s_lshl_b64 s[0:1], s[0:1], 3
	s_add_u32 s6, s6, s0
	s_addc_u32 s0, s13, s1
	v_mov_b32_e32 v2, v5
	v_mov_b32_e32 v7, s0
	v_mul_lo_u32 v8, s23, v3
	v_mul_lo_u32 v9, s22, v4
	v_mad_u64_u32 v[5:6], s[0:1], s22, v3, 0
	v_lshlrev_b64 v[1:2], 3, v[1:2]
	v_add_co_u32_e32 v10, vcc, s6, v1
	v_add3_u32 v6, v6, v9, v8
	v_addc_co_u32_e32 v7, vcc, v7, v2, vcc
	v_lshlrev_b64 v[1:2], 3, v[5:6]
	s_mul_i32 s6, s12, s14
	v_add_co_u32_e32 v1, vcc, v10, v1
	v_addc_co_u32_e32 v2, vcc, v7, v2, vcc
	global_load_dwordx2 v[1:2], v[1:2], off
	s_waitcnt vmcnt(0)
	v_cmp_lt_i64_e32 vcc, -1, v[1:2]
	v_cmp_gt_i64_e64 s[0:1], s[6:7], v[1:2]
	s_and_b64 s[0:1], vcc, s[0:1]
	s_and_saveexec_b64 s[10:11], s[0:1]
	s_xor_b64 s[0:1], exec, s[10:11]
	s_cbranch_execz .LBB10_6
; %bb.5:
	s_load_dwordx8 s[12:19], s[4:5], 0x28
	s_load_dwordx2 s[10:11], s[4:5], 0x0
	s_waitcnt lgkmcnt(0)
	s_mul_i32 s4, s12, s27
	s_mul_hi_u32 s5, s12, s26
	s_mul_i32 s13, s13, s26
	s_add_i32 s4, s5, s4
	s_mul_i32 s12, s12, s26
	s_add_i32 s4, s4, s13
	s_add_u32 s5, s10, s12
	s_mul_i32 s3, s14, s3
	s_mul_hi_u32 s10, s14, s2
	s_addc_u32 s4, s11, s4
	s_add_i32 s3, s10, s3
	s_mul_i32 s10, s15, s2
	s_add_i32 s3, s3, s10
	s_mul_i32 s2, s14, s2
	s_add_u32 s2, s5, s2
	s_addc_u32 s3, s4, s3
	v_mov_b32_e32 v6, s3
	v_mov_b32_e32 v5, s2
	v_mad_u64_u32 v[5:6], s[2:3], s16, v0, v[5:6]
	v_mad_u64_u32 v[6:7], s[2:3], s17, v0, v[6:7]
	v_mul_lo_u32 v0, s18, v4
	v_mad_u64_u32 v[5:6], s[2:3], s18, v3, v[5:6]
	v_mul_lo_u32 v3, s19, v3
	s_mul_i32 s2, s6, s27
	s_mul_hi_u32 s3, s6, s26
	s_add_i32 s2, s3, s2
	v_add3_u32 v6, v3, v6, v0
	global_load_ubyte v3, v[5:6], off
	s_mul_i32 s3, s7, s26
	s_add_i32 s2, s2, s3
	s_mul_i32 s3, s6, s26
	s_add_u32 s3, s8, s3
	s_addc_u32 s2, s9, s2
	v_mov_b32_e32 v4, s2
	v_add_co_u32_e32 v0, vcc, s3, v1
	v_addc_co_u32_e32 v1, vcc, v4, v2, vcc
	s_waitcnt vmcnt(0)
	global_store_byte v[0:1], v3, off
.LBB10_6:
	s_andn2_saveexec_b64 s[0:1], s[0:1]
	s_cbranch_execnz .LBB10_9
.LBB10_7:
	s_endpgm
.LBB10_8:
                                        ; implicit-def: $sgpr26_sgpr27
	s_load_dword s8, s[4:5], 0xc4
	s_branch .LBB10_2
.LBB10_9:
	s_trap 2
	; divergent unreachable
	s_endpgm
	.section	.rodata,"a",@progbits
	.p2align	6, 0x0
	.amdhsa_kernel _ZN2at6native30max_unpooling3d_forward_kernelIaEEvN5torch10headeronly6detail27GenericPackedTensorAccessorINS4_14TensorAccessorIN3c108ArrayRefIlEEKT_Lm3ENS3_16DefaultPtrTraitsElEENS_6detail16IndexBoundsCheckILm4ElEESB_Lm4ESC_lEENS5_INS6_IS9_KlLm3ESC_lEESG_SI_Lm4ESC_lEEPSA_llll
		.amdhsa_group_segment_fixed_size 0
		.amdhsa_private_segment_fixed_size 0
		.amdhsa_kernarg_size 440
		.amdhsa_user_sgpr_count 6
		.amdhsa_user_sgpr_private_segment_buffer 1
		.amdhsa_user_sgpr_dispatch_ptr 0
		.amdhsa_user_sgpr_queue_ptr 0
		.amdhsa_user_sgpr_kernarg_segment_ptr 1
		.amdhsa_user_sgpr_dispatch_id 0
		.amdhsa_user_sgpr_flat_scratch_init 0
		.amdhsa_user_sgpr_private_segment_size 0
		.amdhsa_uses_dynamic_stack 0
		.amdhsa_system_sgpr_private_segment_wavefront_offset 0
		.amdhsa_system_sgpr_workgroup_id_x 1
		.amdhsa_system_sgpr_workgroup_id_y 1
		.amdhsa_system_sgpr_workgroup_id_z 1
		.amdhsa_system_sgpr_workgroup_info 0
		.amdhsa_system_vgpr_workitem_id 1
		.amdhsa_next_free_vgpr 11
		.amdhsa_next_free_sgpr 28
		.amdhsa_reserve_vcc 1
		.amdhsa_reserve_flat_scratch 0
		.amdhsa_float_round_mode_32 0
		.amdhsa_float_round_mode_16_64 0
		.amdhsa_float_denorm_mode_32 3
		.amdhsa_float_denorm_mode_16_64 3
		.amdhsa_dx10_clamp 1
		.amdhsa_ieee_mode 1
		.amdhsa_fp16_overflow 0
		.amdhsa_exception_fp_ieee_invalid_op 0
		.amdhsa_exception_fp_denorm_src 0
		.amdhsa_exception_fp_ieee_div_zero 0
		.amdhsa_exception_fp_ieee_overflow 0
		.amdhsa_exception_fp_ieee_underflow 0
		.amdhsa_exception_fp_ieee_inexact 0
		.amdhsa_exception_int_div_zero 0
	.end_amdhsa_kernel
	.section	.text._ZN2at6native30max_unpooling3d_forward_kernelIaEEvN5torch10headeronly6detail27GenericPackedTensorAccessorINS4_14TensorAccessorIN3c108ArrayRefIlEEKT_Lm3ENS3_16DefaultPtrTraitsElEENS_6detail16IndexBoundsCheckILm4ElEESB_Lm4ESC_lEENS5_INS6_IS9_KlLm3ESC_lEESG_SI_Lm4ESC_lEEPSA_llll,"axG",@progbits,_ZN2at6native30max_unpooling3d_forward_kernelIaEEvN5torch10headeronly6detail27GenericPackedTensorAccessorINS4_14TensorAccessorIN3c108ArrayRefIlEEKT_Lm3ENS3_16DefaultPtrTraitsElEENS_6detail16IndexBoundsCheckILm4ElEESB_Lm4ESC_lEENS5_INS6_IS9_KlLm3ESC_lEESG_SI_Lm4ESC_lEEPSA_llll,comdat
.Lfunc_end10:
	.size	_ZN2at6native30max_unpooling3d_forward_kernelIaEEvN5torch10headeronly6detail27GenericPackedTensorAccessorINS4_14TensorAccessorIN3c108ArrayRefIlEEKT_Lm3ENS3_16DefaultPtrTraitsElEENS_6detail16IndexBoundsCheckILm4ElEESB_Lm4ESC_lEENS5_INS6_IS9_KlLm3ESC_lEESG_SI_Lm4ESC_lEEPSA_llll, .Lfunc_end10-_ZN2at6native30max_unpooling3d_forward_kernelIaEEvN5torch10headeronly6detail27GenericPackedTensorAccessorINS4_14TensorAccessorIN3c108ArrayRefIlEEKT_Lm3ENS3_16DefaultPtrTraitsElEENS_6detail16IndexBoundsCheckILm4ElEESB_Lm4ESC_lEENS5_INS6_IS9_KlLm3ESC_lEESG_SI_Lm4ESC_lEEPSA_llll
                                        ; -- End function
	.set _ZN2at6native30max_unpooling3d_forward_kernelIaEEvN5torch10headeronly6detail27GenericPackedTensorAccessorINS4_14TensorAccessorIN3c108ArrayRefIlEEKT_Lm3ENS3_16DefaultPtrTraitsElEENS_6detail16IndexBoundsCheckILm4ElEESB_Lm4ESC_lEENS5_INS6_IS9_KlLm3ESC_lEESG_SI_Lm4ESC_lEEPSA_llll.num_vgpr, 11
	.set _ZN2at6native30max_unpooling3d_forward_kernelIaEEvN5torch10headeronly6detail27GenericPackedTensorAccessorINS4_14TensorAccessorIN3c108ArrayRefIlEEKT_Lm3ENS3_16DefaultPtrTraitsElEENS_6detail16IndexBoundsCheckILm4ElEESB_Lm4ESC_lEENS5_INS6_IS9_KlLm3ESC_lEESG_SI_Lm4ESC_lEEPSA_llll.num_agpr, 0
	.set _ZN2at6native30max_unpooling3d_forward_kernelIaEEvN5torch10headeronly6detail27GenericPackedTensorAccessorINS4_14TensorAccessorIN3c108ArrayRefIlEEKT_Lm3ENS3_16DefaultPtrTraitsElEENS_6detail16IndexBoundsCheckILm4ElEESB_Lm4ESC_lEENS5_INS6_IS9_KlLm3ESC_lEESG_SI_Lm4ESC_lEEPSA_llll.numbered_sgpr, 28
	.set _ZN2at6native30max_unpooling3d_forward_kernelIaEEvN5torch10headeronly6detail27GenericPackedTensorAccessorINS4_14TensorAccessorIN3c108ArrayRefIlEEKT_Lm3ENS3_16DefaultPtrTraitsElEENS_6detail16IndexBoundsCheckILm4ElEESB_Lm4ESC_lEENS5_INS6_IS9_KlLm3ESC_lEESG_SI_Lm4ESC_lEEPSA_llll.num_named_barrier, 0
	.set _ZN2at6native30max_unpooling3d_forward_kernelIaEEvN5torch10headeronly6detail27GenericPackedTensorAccessorINS4_14TensorAccessorIN3c108ArrayRefIlEEKT_Lm3ENS3_16DefaultPtrTraitsElEENS_6detail16IndexBoundsCheckILm4ElEESB_Lm4ESC_lEENS5_INS6_IS9_KlLm3ESC_lEESG_SI_Lm4ESC_lEEPSA_llll.private_seg_size, 0
	.set _ZN2at6native30max_unpooling3d_forward_kernelIaEEvN5torch10headeronly6detail27GenericPackedTensorAccessorINS4_14TensorAccessorIN3c108ArrayRefIlEEKT_Lm3ENS3_16DefaultPtrTraitsElEENS_6detail16IndexBoundsCheckILm4ElEESB_Lm4ESC_lEENS5_INS6_IS9_KlLm3ESC_lEESG_SI_Lm4ESC_lEEPSA_llll.uses_vcc, 1
	.set _ZN2at6native30max_unpooling3d_forward_kernelIaEEvN5torch10headeronly6detail27GenericPackedTensorAccessorINS4_14TensorAccessorIN3c108ArrayRefIlEEKT_Lm3ENS3_16DefaultPtrTraitsElEENS_6detail16IndexBoundsCheckILm4ElEESB_Lm4ESC_lEENS5_INS6_IS9_KlLm3ESC_lEESG_SI_Lm4ESC_lEEPSA_llll.uses_flat_scratch, 0
	.set _ZN2at6native30max_unpooling3d_forward_kernelIaEEvN5torch10headeronly6detail27GenericPackedTensorAccessorINS4_14TensorAccessorIN3c108ArrayRefIlEEKT_Lm3ENS3_16DefaultPtrTraitsElEENS_6detail16IndexBoundsCheckILm4ElEESB_Lm4ESC_lEENS5_INS6_IS9_KlLm3ESC_lEESG_SI_Lm4ESC_lEEPSA_llll.has_dyn_sized_stack, 0
	.set _ZN2at6native30max_unpooling3d_forward_kernelIaEEvN5torch10headeronly6detail27GenericPackedTensorAccessorINS4_14TensorAccessorIN3c108ArrayRefIlEEKT_Lm3ENS3_16DefaultPtrTraitsElEENS_6detail16IndexBoundsCheckILm4ElEESB_Lm4ESC_lEENS5_INS6_IS9_KlLm3ESC_lEESG_SI_Lm4ESC_lEEPSA_llll.has_recursion, 0
	.set _ZN2at6native30max_unpooling3d_forward_kernelIaEEvN5torch10headeronly6detail27GenericPackedTensorAccessorINS4_14TensorAccessorIN3c108ArrayRefIlEEKT_Lm3ENS3_16DefaultPtrTraitsElEENS_6detail16IndexBoundsCheckILm4ElEESB_Lm4ESC_lEENS5_INS6_IS9_KlLm3ESC_lEESG_SI_Lm4ESC_lEEPSA_llll.has_indirect_call, 0
	.section	.AMDGPU.csdata,"",@progbits
; Kernel info:
; codeLenInByte = 1316
; TotalNumSgprs: 32
; NumVgprs: 11
; ScratchSize: 0
; MemoryBound: 0
; FloatMode: 240
; IeeeMode: 1
; LDSByteSize: 0 bytes/workgroup (compile time only)
; SGPRBlocks: 3
; VGPRBlocks: 2
; NumSGPRsForWavesPerEU: 32
; NumVGPRsForWavesPerEU: 11
; Occupancy: 10
; WaveLimiterHint : 1
; COMPUTE_PGM_RSRC2:SCRATCH_EN: 0
; COMPUTE_PGM_RSRC2:USER_SGPR: 6
; COMPUTE_PGM_RSRC2:TRAP_HANDLER: 0
; COMPUTE_PGM_RSRC2:TGID_X_EN: 1
; COMPUTE_PGM_RSRC2:TGID_Y_EN: 1
; COMPUTE_PGM_RSRC2:TGID_Z_EN: 1
; COMPUTE_PGM_RSRC2:TIDIG_COMP_CNT: 1
	.section	.text._ZN2at6native30max_unpooling3d_forward_kernelIiEEvN5torch10headeronly6detail27GenericPackedTensorAccessorINS4_14TensorAccessorIN3c108ArrayRefIlEEKT_Lm3ENS3_16DefaultPtrTraitsElEENS_6detail16IndexBoundsCheckILm4ElEESB_Lm4ESC_lEENS5_INS6_IS9_KlLm3ESC_lEESG_SI_Lm4ESC_lEEPSA_llll,"axG",@progbits,_ZN2at6native30max_unpooling3d_forward_kernelIiEEvN5torch10headeronly6detail27GenericPackedTensorAccessorINS4_14TensorAccessorIN3c108ArrayRefIlEEKT_Lm3ENS3_16DefaultPtrTraitsElEENS_6detail16IndexBoundsCheckILm4ElEESB_Lm4ESC_lEENS5_INS6_IS9_KlLm3ESC_lEESG_SI_Lm4ESC_lEEPSA_llll,comdat
	.protected	_ZN2at6native30max_unpooling3d_forward_kernelIiEEvN5torch10headeronly6detail27GenericPackedTensorAccessorINS4_14TensorAccessorIN3c108ArrayRefIlEEKT_Lm3ENS3_16DefaultPtrTraitsElEENS_6detail16IndexBoundsCheckILm4ElEESB_Lm4ESC_lEENS5_INS6_IS9_KlLm3ESC_lEESG_SI_Lm4ESC_lEEPSA_llll ; -- Begin function _ZN2at6native30max_unpooling3d_forward_kernelIiEEvN5torch10headeronly6detail27GenericPackedTensorAccessorINS4_14TensorAccessorIN3c108ArrayRefIlEEKT_Lm3ENS3_16DefaultPtrTraitsElEENS_6detail16IndexBoundsCheckILm4ElEESB_Lm4ESC_lEENS5_INS6_IS9_KlLm3ESC_lEESG_SI_Lm4ESC_lEEPSA_llll
	.globl	_ZN2at6native30max_unpooling3d_forward_kernelIiEEvN5torch10headeronly6detail27GenericPackedTensorAccessorINS4_14TensorAccessorIN3c108ArrayRefIlEEKT_Lm3ENS3_16DefaultPtrTraitsElEENS_6detail16IndexBoundsCheckILm4ElEESB_Lm4ESC_lEENS5_INS6_IS9_KlLm3ESC_lEESG_SI_Lm4ESC_lEEPSA_llll
	.p2align	8
	.type	_ZN2at6native30max_unpooling3d_forward_kernelIiEEvN5torch10headeronly6detail27GenericPackedTensorAccessorINS4_14TensorAccessorIN3c108ArrayRefIlEEKT_Lm3ENS3_16DefaultPtrTraitsElEENS_6detail16IndexBoundsCheckILm4ElEESB_Lm4ESC_lEENS5_INS6_IS9_KlLm3ESC_lEESG_SI_Lm4ESC_lEEPSA_llll,@function
_ZN2at6native30max_unpooling3d_forward_kernelIiEEvN5torch10headeronly6detail27GenericPackedTensorAccessorINS4_14TensorAccessorIN3c108ArrayRefIlEEKT_Lm3ENS3_16DefaultPtrTraitsElEENS_6detail16IndexBoundsCheckILm4ElEESB_Lm4ESC_lEENS5_INS6_IS9_KlLm3ESC_lEESG_SI_Lm4ESC_lEEPSA_llll: ; @_ZN2at6native30max_unpooling3d_forward_kernelIiEEvN5torch10headeronly6detail27GenericPackedTensorAccessorINS4_14TensorAccessorIN3c108ArrayRefIlEEKT_Lm3ENS3_16DefaultPtrTraitsElEENS_6detail16IndexBoundsCheckILm4ElEESB_Lm4ESC_lEENS5_INS6_IS9_KlLm3ESC_lEESG_SI_Lm4ESC_lEEPSA_llll
; %bb.0:
	s_load_dwordx2 s[0:1], s[4:5], 0xb0
	s_load_dwordx2 s[24:25], s[4:5], 0x10
	s_mov_b32 s10, 0
	v_mov_b32_e32 v2, v1
	s_waitcnt lgkmcnt(0)
	s_add_u32 s2, s0, s8
	s_addc_u32 s3, s1, 0
	s_or_b64 s[0:1], s[2:3], s[24:25]
	s_mov_b32 s11, s1
	s_cmp_lg_u64 s[10:11], 0
	s_cbranch_scc0 .LBB11_8
; %bb.1:
	s_ashr_i32 s8, s25, 31
	s_add_u32 s0, s24, s8
	s_mov_b32 s9, s8
	s_addc_u32 s1, s25, s8
	s_xor_b64 s[10:11], s[0:1], s[8:9]
	v_cvt_f32_u32_e32 v1, s10
	v_cvt_f32_u32_e32 v3, s11
	s_sub_u32 s14, 0, s10
	s_subb_u32 s15, 0, s11
	v_madmk_f32 v1, v3, 0x4f800000, v1
	v_rcp_f32_e32 v1, v1
	v_mul_f32_e32 v1, 0x5f7ffffc, v1
	v_mul_f32_e32 v3, 0x2f800000, v1
	v_trunc_f32_e32 v3, v3
	v_madmk_f32 v1, v3, 0xcf800000, v1
	v_cvt_u32_f32_e32 v3, v3
	v_cvt_u32_f32_e32 v1, v1
	v_readfirstlane_b32 s16, v3
	v_readfirstlane_b32 s12, v1
	s_mul_i32 s13, s14, s16
	s_mul_hi_u32 s18, s14, s12
	s_mul_i32 s17, s15, s12
	s_add_i32 s13, s18, s13
	s_add_i32 s13, s13, s17
	s_mul_i32 s19, s14, s12
	s_mul_i32 s18, s12, s13
	s_mul_hi_u32 s20, s12, s19
	s_mul_hi_u32 s17, s12, s13
	s_add_u32 s18, s20, s18
	s_addc_u32 s17, 0, s17
	s_mul_hi_u32 s21, s16, s19
	s_mul_i32 s19, s16, s19
	s_add_u32 s18, s18, s19
	s_mul_hi_u32 s20, s16, s13
	s_addc_u32 s17, s17, s21
	s_addc_u32 s18, s20, 0
	s_mul_i32 s13, s16, s13
	s_add_u32 s13, s17, s13
	s_addc_u32 s17, 0, s18
	s_add_u32 s18, s12, s13
	s_cselect_b64 s[12:13], -1, 0
	s_cmp_lg_u64 s[12:13], 0
	s_addc_u32 s16, s16, s17
	s_mul_i32 s12, s14, s16
	s_mul_hi_u32 s13, s14, s18
	s_add_i32 s12, s13, s12
	s_mul_i32 s15, s15, s18
	s_add_i32 s12, s12, s15
	s_mul_i32 s14, s14, s18
	s_mul_hi_u32 s15, s16, s14
	s_mul_i32 s17, s16, s14
	s_mul_i32 s20, s18, s12
	s_mul_hi_u32 s14, s18, s14
	s_mul_hi_u32 s19, s18, s12
	s_add_u32 s14, s14, s20
	s_addc_u32 s19, 0, s19
	s_add_u32 s14, s14, s17
	s_mul_hi_u32 s13, s16, s12
	s_addc_u32 s14, s19, s15
	s_addc_u32 s13, s13, 0
	s_mul_i32 s12, s16, s12
	s_add_u32 s12, s14, s12
	s_addc_u32 s14, 0, s13
	s_add_u32 s17, s18, s12
	s_cselect_b64 s[12:13], -1, 0
	s_cmp_lg_u64 s[12:13], 0
	s_addc_u32 s16, s16, s14
	s_ashr_i32 s12, s3, 31
	s_add_u32 s14, s2, s12
	s_mov_b32 s13, s12
	s_addc_u32 s15, s3, s12
	s_xor_b64 s[14:15], s[14:15], s[12:13]
	s_mul_i32 s19, s14, s16
	s_mul_hi_u32 s20, s14, s17
	s_mul_hi_u32 s18, s14, s16
	s_add_u32 s19, s20, s19
	s_addc_u32 s18, 0, s18
	s_mul_hi_u32 s21, s15, s17
	s_mul_i32 s17, s15, s17
	s_add_u32 s17, s19, s17
	s_mul_hi_u32 s20, s15, s16
	s_addc_u32 s17, s18, s21
	s_addc_u32 s18, s20, 0
	s_mul_i32 s16, s15, s16
	s_add_u32 s20, s17, s16
	s_addc_u32 s21, 0, s18
	s_mul_i32 s16, s10, s21
	s_mul_hi_u32 s17, s10, s20
	s_add_i32 s16, s17, s16
	s_mul_i32 s17, s11, s20
	s_add_i32 s22, s16, s17
	s_sub_i32 s18, s15, s22
	s_mul_i32 s16, s10, s20
	s_sub_u32 s14, s14, s16
	s_cselect_b64 s[16:17], -1, 0
	s_cmp_lg_u64 s[16:17], 0
	s_subb_u32 s23, s18, s11
	s_sub_u32 s26, s14, s10
	s_cselect_b64 s[18:19], -1, 0
	s_cmp_lg_u64 s[18:19], 0
	s_subb_u32 s18, s23, 0
	s_cmp_ge_u32 s18, s11
	s_cselect_b32 s19, -1, 0
	s_cmp_ge_u32 s26, s10
	s_cselect_b32 s23, -1, 0
	s_cmp_eq_u32 s18, s11
	s_cselect_b32 s18, s23, s19
	s_add_u32 s19, s20, 1
	s_addc_u32 s23, s21, 0
	s_add_u32 s26, s20, 2
	s_addc_u32 s27, s21, 0
	s_cmp_lg_u32 s18, 0
	s_cselect_b32 s18, s26, s19
	s_cselect_b32 s19, s27, s23
	s_cmp_lg_u64 s[16:17], 0
	s_subb_u32 s15, s15, s22
	s_cmp_ge_u32 s15, s11
	s_cselect_b32 s16, -1, 0
	s_cmp_ge_u32 s14, s10
	s_cselect_b32 s10, -1, 0
	s_cmp_eq_u32 s15, s11
	s_cselect_b32 s10, s10, s16
	s_cmp_lg_u32 s10, 0
	s_cselect_b32 s11, s19, s21
	s_cselect_b32 s10, s18, s20
	s_xor_b64 s[8:9], s[12:13], s[8:9]
	s_xor_b64 s[10:11], s[10:11], s[8:9]
	s_sub_u32 s26, s10, s8
	s_subb_u32 s27, s11, s9
	s_load_dword s8, s[4:5], 0xc4
	s_cbranch_execnz .LBB11_3
.LBB11_2:
	v_cvt_f32_u32_e32 v1, s24
	s_sub_i32 s0, 0, s24
	s_mov_b32 s27, 0
	v_rcp_iflag_f32_e32 v1, v1
	v_mul_f32_e32 v1, 0x4f7ffffe, v1
	v_cvt_u32_f32_e32 v1, v1
	v_readfirstlane_b32 s1, v1
	s_mul_i32 s0, s0, s1
	s_mul_hi_u32 s0, s1, s0
	s_add_i32 s1, s1, s0
	s_mul_hi_u32 s0, s2, s1
	s_mul_i32 s9, s0, s24
	s_sub_i32 s9, s2, s9
	s_add_i32 s1, s0, 1
	s_sub_i32 s10, s9, s24
	s_cmp_ge_u32 s9, s24
	s_cselect_b32 s0, s1, s0
	s_cselect_b32 s9, s10, s9
	s_add_i32 s1, s0, 1
	s_cmp_ge_u32 s9, s24
	s_cselect_b32 s26, s1, s0
.LBB11_3:
	s_waitcnt lgkmcnt(0)
	s_lshr_b32 s12, s8, 16
	v_mov_b32_e32 v1, 0
	s_and_b32 s0, s8, 0xffff
	v_mov_b32_e32 v3, s6
	s_load_dwordx4 s[8:11], s[4:5], 0x18
	v_mad_u64_u32 v[3:4], s[0:1], s0, v3, v[0:1]
	s_mul_i32 s7, s7, s12
	v_add_u32_e32 v0, s7, v2
	s_waitcnt lgkmcnt(0)
	v_cmp_gt_i64_e32 vcc, s[8:9], v[0:1]
	v_cmp_gt_i64_e64 s[0:1], s[10:11], v[3:4]
	s_and_b64 s[0:1], vcc, s[0:1]
	s_and_saveexec_b64 s[6:7], s[0:1]
	s_cbranch_execz .LBB11_7
; %bb.4:
	s_load_dwordx8 s[8:15], s[4:5], 0x90
	s_load_dwordx8 s[16:23], s[4:5], 0x70
	s_waitcnt lgkmcnt(0)
	s_mul_i32 s0, s12, s11
	s_mul_hi_u32 s1, s12, s10
	s_mul_i32 s6, s13, s10
	s_mul_i32 s12, s12, s10
	s_add_i32 s0, s1, s0
	s_mul_i32 s1, s12, s15
	s_add_i32 s0, s0, s6
	s_mul_hi_u32 s6, s12, s14
	s_add_i32 s1, s6, s1
	s_mul_i32 s0, s0, s14
	s_add_i32 s7, s1, s0
	s_mul_i32 s0, s26, s25
	s_mul_hi_u32 s1, s26, s24
	s_add_i32 s0, s1, s0
	s_mul_i32 s1, s27, s24
	s_add_i32 s0, s0, s1
	s_mul_i32 s1, s26, s24
	s_sub_u32 s2, s2, s1
	s_subb_u32 s3, s3, s0
	s_load_dwordx2 s[0:1], s[4:5], 0x48
	s_mul_i32 s6, s16, s27
	s_mul_hi_u32 s10, s16, s26
	s_add_i32 s6, s10, s6
	s_mul_i32 s10, s17, s26
	s_add_i32 s11, s6, s10
	s_mul_i32 s10, s16, s26
	s_lshl_b64 s[10:11], s[10:11], 3
	s_waitcnt lgkmcnt(0)
	s_add_u32 s6, s0, s10
	s_addc_u32 s13, s1, s11
	s_mul_i32 s0, s18, s3
	s_mul_hi_u32 s1, s18, s2
	s_add_i32 s10, s1, s0
	v_mad_u64_u32 v[1:2], s[0:1], s20, v0, 0
	s_mul_i32 s0, s19, s2
	s_add_i32 s1, s10, s0
	s_mul_i32 s0, s18, s2
	v_mad_u64_u32 v[5:6], s[10:11], s21, v0, v[2:3]
	s_lshl_b64 s[0:1], s[0:1], 3
	s_add_u32 s6, s6, s0
	s_addc_u32 s0, s13, s1
	v_mov_b32_e32 v2, v5
	v_mov_b32_e32 v7, s0
	v_mul_lo_u32 v8, s23, v3
	v_mul_lo_u32 v9, s22, v4
	v_mad_u64_u32 v[5:6], s[0:1], s22, v3, 0
	v_lshlrev_b64 v[1:2], 3, v[1:2]
	v_add_co_u32_e32 v10, vcc, s6, v1
	v_add3_u32 v6, v6, v9, v8
	v_addc_co_u32_e32 v7, vcc, v7, v2, vcc
	v_lshlrev_b64 v[1:2], 3, v[5:6]
	s_mul_i32 s6, s12, s14
	v_add_co_u32_e32 v1, vcc, v10, v1
	v_addc_co_u32_e32 v2, vcc, v7, v2, vcc
	global_load_dwordx2 v[1:2], v[1:2], off
	s_waitcnt vmcnt(0)
	v_cmp_lt_i64_e32 vcc, -1, v[1:2]
	v_cmp_gt_i64_e64 s[0:1], s[6:7], v[1:2]
	s_and_b64 s[0:1], vcc, s[0:1]
	s_and_saveexec_b64 s[10:11], s[0:1]
	s_xor_b64 s[0:1], exec, s[10:11]
	s_cbranch_execz .LBB11_6
; %bb.5:
	s_load_dwordx8 s[12:19], s[4:5], 0x28
	s_load_dwordx2 s[10:11], s[4:5], 0x0
	s_waitcnt lgkmcnt(0)
	s_mul_i32 s5, s12, s27
	s_mul_hi_u32 s20, s12, s26
	s_mul_i32 s13, s13, s26
	s_add_i32 s5, s20, s5
	s_mul_i32 s4, s12, s26
	s_add_i32 s5, s5, s13
	s_lshl_b64 s[4:5], s[4:5], 2
	s_add_u32 s10, s10, s4
	s_mul_i32 s3, s14, s3
	s_mul_hi_u32 s4, s14, s2
	s_addc_u32 s11, s11, s5
	s_add_i32 s3, s4, s3
	v_mad_u64_u32 v[5:6], s[4:5], s16, v0, 0
	s_mul_i32 s4, s15, s2
	s_add_i32 s3, s3, s4
	s_mul_i32 s2, s14, s2
	v_mad_u64_u32 v[6:7], s[4:5], s17, v0, v[6:7]
	s_lshl_b64 s[2:3], s[2:3], 2
	s_add_u32 s4, s10, s2
	s_addc_u32 s2, s11, s3
	v_mov_b32_e32 v0, s2
	v_mul_lo_u32 v7, s19, v3
	v_mul_lo_u32 v8, s18, v4
	v_mad_u64_u32 v[3:4], s[2:3], s18, v3, 0
	v_lshlrev_b64 v[5:6], 2, v[5:6]
	s_mul_i32 s2, s6, s27
	v_add3_u32 v4, v4, v8, v7
	v_add_co_u32_e32 v5, vcc, s4, v5
	v_lshlrev_b64 v[3:4], 2, v[3:4]
	v_addc_co_u32_e32 v0, vcc, v0, v6, vcc
	v_add_co_u32_e32 v3, vcc, v5, v3
	v_addc_co_u32_e32 v4, vcc, v0, v4, vcc
	global_load_dword v3, v[3:4], off
	s_mul_hi_u32 s3, s6, s26
	s_add_i32 s2, s3, s2
	s_mul_i32 s3, s7, s26
	s_add_i32 s3, s2, s3
	s_mul_i32 s2, s6, s26
	s_lshl_b64 s[2:3], s[2:3], 2
	s_add_u32 s2, s8, s2
	v_lshlrev_b64 v[0:1], 2, v[1:2]
	s_addc_u32 s3, s9, s3
	v_mov_b32_e32 v2, s3
	v_add_co_u32_e32 v0, vcc, s2, v0
	v_addc_co_u32_e32 v1, vcc, v2, v1, vcc
	s_waitcnt vmcnt(0)
	global_store_dword v[0:1], v3, off
.LBB11_6:
	s_andn2_saveexec_b64 s[0:1], s[0:1]
	s_cbranch_execnz .LBB11_9
.LBB11_7:
	s_endpgm
.LBB11_8:
                                        ; implicit-def: $sgpr26_sgpr27
	s_load_dword s8, s[4:5], 0xc4
	s_branch .LBB11_2
.LBB11_9:
	s_trap 2
	; divergent unreachable
	s_endpgm
	.section	.rodata,"a",@progbits
	.p2align	6, 0x0
	.amdhsa_kernel _ZN2at6native30max_unpooling3d_forward_kernelIiEEvN5torch10headeronly6detail27GenericPackedTensorAccessorINS4_14TensorAccessorIN3c108ArrayRefIlEEKT_Lm3ENS3_16DefaultPtrTraitsElEENS_6detail16IndexBoundsCheckILm4ElEESB_Lm4ESC_lEENS5_INS6_IS9_KlLm3ESC_lEESG_SI_Lm4ESC_lEEPSA_llll
		.amdhsa_group_segment_fixed_size 0
		.amdhsa_private_segment_fixed_size 0
		.amdhsa_kernarg_size 440
		.amdhsa_user_sgpr_count 6
		.amdhsa_user_sgpr_private_segment_buffer 1
		.amdhsa_user_sgpr_dispatch_ptr 0
		.amdhsa_user_sgpr_queue_ptr 0
		.amdhsa_user_sgpr_kernarg_segment_ptr 1
		.amdhsa_user_sgpr_dispatch_id 0
		.amdhsa_user_sgpr_flat_scratch_init 0
		.amdhsa_user_sgpr_private_segment_size 0
		.amdhsa_uses_dynamic_stack 0
		.amdhsa_system_sgpr_private_segment_wavefront_offset 0
		.amdhsa_system_sgpr_workgroup_id_x 1
		.amdhsa_system_sgpr_workgroup_id_y 1
		.amdhsa_system_sgpr_workgroup_id_z 1
		.amdhsa_system_sgpr_workgroup_info 0
		.amdhsa_system_vgpr_workitem_id 1
		.amdhsa_next_free_vgpr 11
		.amdhsa_next_free_sgpr 28
		.amdhsa_reserve_vcc 1
		.amdhsa_reserve_flat_scratch 0
		.amdhsa_float_round_mode_32 0
		.amdhsa_float_round_mode_16_64 0
		.amdhsa_float_denorm_mode_32 3
		.amdhsa_float_denorm_mode_16_64 3
		.amdhsa_dx10_clamp 1
		.amdhsa_ieee_mode 1
		.amdhsa_fp16_overflow 0
		.amdhsa_exception_fp_ieee_invalid_op 0
		.amdhsa_exception_fp_denorm_src 0
		.amdhsa_exception_fp_ieee_div_zero 0
		.amdhsa_exception_fp_ieee_overflow 0
		.amdhsa_exception_fp_ieee_underflow 0
		.amdhsa_exception_fp_ieee_inexact 0
		.amdhsa_exception_int_div_zero 0
	.end_amdhsa_kernel
	.section	.text._ZN2at6native30max_unpooling3d_forward_kernelIiEEvN5torch10headeronly6detail27GenericPackedTensorAccessorINS4_14TensorAccessorIN3c108ArrayRefIlEEKT_Lm3ENS3_16DefaultPtrTraitsElEENS_6detail16IndexBoundsCheckILm4ElEESB_Lm4ESC_lEENS5_INS6_IS9_KlLm3ESC_lEESG_SI_Lm4ESC_lEEPSA_llll,"axG",@progbits,_ZN2at6native30max_unpooling3d_forward_kernelIiEEvN5torch10headeronly6detail27GenericPackedTensorAccessorINS4_14TensorAccessorIN3c108ArrayRefIlEEKT_Lm3ENS3_16DefaultPtrTraitsElEENS_6detail16IndexBoundsCheckILm4ElEESB_Lm4ESC_lEENS5_INS6_IS9_KlLm3ESC_lEESG_SI_Lm4ESC_lEEPSA_llll,comdat
.Lfunc_end11:
	.size	_ZN2at6native30max_unpooling3d_forward_kernelIiEEvN5torch10headeronly6detail27GenericPackedTensorAccessorINS4_14TensorAccessorIN3c108ArrayRefIlEEKT_Lm3ENS3_16DefaultPtrTraitsElEENS_6detail16IndexBoundsCheckILm4ElEESB_Lm4ESC_lEENS5_INS6_IS9_KlLm3ESC_lEESG_SI_Lm4ESC_lEEPSA_llll, .Lfunc_end11-_ZN2at6native30max_unpooling3d_forward_kernelIiEEvN5torch10headeronly6detail27GenericPackedTensorAccessorINS4_14TensorAccessorIN3c108ArrayRefIlEEKT_Lm3ENS3_16DefaultPtrTraitsElEENS_6detail16IndexBoundsCheckILm4ElEESB_Lm4ESC_lEENS5_INS6_IS9_KlLm3ESC_lEESG_SI_Lm4ESC_lEEPSA_llll
                                        ; -- End function
	.set _ZN2at6native30max_unpooling3d_forward_kernelIiEEvN5torch10headeronly6detail27GenericPackedTensorAccessorINS4_14TensorAccessorIN3c108ArrayRefIlEEKT_Lm3ENS3_16DefaultPtrTraitsElEENS_6detail16IndexBoundsCheckILm4ElEESB_Lm4ESC_lEENS5_INS6_IS9_KlLm3ESC_lEESG_SI_Lm4ESC_lEEPSA_llll.num_vgpr, 11
	.set _ZN2at6native30max_unpooling3d_forward_kernelIiEEvN5torch10headeronly6detail27GenericPackedTensorAccessorINS4_14TensorAccessorIN3c108ArrayRefIlEEKT_Lm3ENS3_16DefaultPtrTraitsElEENS_6detail16IndexBoundsCheckILm4ElEESB_Lm4ESC_lEENS5_INS6_IS9_KlLm3ESC_lEESG_SI_Lm4ESC_lEEPSA_llll.num_agpr, 0
	.set _ZN2at6native30max_unpooling3d_forward_kernelIiEEvN5torch10headeronly6detail27GenericPackedTensorAccessorINS4_14TensorAccessorIN3c108ArrayRefIlEEKT_Lm3ENS3_16DefaultPtrTraitsElEENS_6detail16IndexBoundsCheckILm4ElEESB_Lm4ESC_lEENS5_INS6_IS9_KlLm3ESC_lEESG_SI_Lm4ESC_lEEPSA_llll.numbered_sgpr, 28
	.set _ZN2at6native30max_unpooling3d_forward_kernelIiEEvN5torch10headeronly6detail27GenericPackedTensorAccessorINS4_14TensorAccessorIN3c108ArrayRefIlEEKT_Lm3ENS3_16DefaultPtrTraitsElEENS_6detail16IndexBoundsCheckILm4ElEESB_Lm4ESC_lEENS5_INS6_IS9_KlLm3ESC_lEESG_SI_Lm4ESC_lEEPSA_llll.num_named_barrier, 0
	.set _ZN2at6native30max_unpooling3d_forward_kernelIiEEvN5torch10headeronly6detail27GenericPackedTensorAccessorINS4_14TensorAccessorIN3c108ArrayRefIlEEKT_Lm3ENS3_16DefaultPtrTraitsElEENS_6detail16IndexBoundsCheckILm4ElEESB_Lm4ESC_lEENS5_INS6_IS9_KlLm3ESC_lEESG_SI_Lm4ESC_lEEPSA_llll.private_seg_size, 0
	.set _ZN2at6native30max_unpooling3d_forward_kernelIiEEvN5torch10headeronly6detail27GenericPackedTensorAccessorINS4_14TensorAccessorIN3c108ArrayRefIlEEKT_Lm3ENS3_16DefaultPtrTraitsElEENS_6detail16IndexBoundsCheckILm4ElEESB_Lm4ESC_lEENS5_INS6_IS9_KlLm3ESC_lEESG_SI_Lm4ESC_lEEPSA_llll.uses_vcc, 1
	.set _ZN2at6native30max_unpooling3d_forward_kernelIiEEvN5torch10headeronly6detail27GenericPackedTensorAccessorINS4_14TensorAccessorIN3c108ArrayRefIlEEKT_Lm3ENS3_16DefaultPtrTraitsElEENS_6detail16IndexBoundsCheckILm4ElEESB_Lm4ESC_lEENS5_INS6_IS9_KlLm3ESC_lEESG_SI_Lm4ESC_lEEPSA_llll.uses_flat_scratch, 0
	.set _ZN2at6native30max_unpooling3d_forward_kernelIiEEvN5torch10headeronly6detail27GenericPackedTensorAccessorINS4_14TensorAccessorIN3c108ArrayRefIlEEKT_Lm3ENS3_16DefaultPtrTraitsElEENS_6detail16IndexBoundsCheckILm4ElEESB_Lm4ESC_lEENS5_INS6_IS9_KlLm3ESC_lEESG_SI_Lm4ESC_lEEPSA_llll.has_dyn_sized_stack, 0
	.set _ZN2at6native30max_unpooling3d_forward_kernelIiEEvN5torch10headeronly6detail27GenericPackedTensorAccessorINS4_14TensorAccessorIN3c108ArrayRefIlEEKT_Lm3ENS3_16DefaultPtrTraitsElEENS_6detail16IndexBoundsCheckILm4ElEESB_Lm4ESC_lEENS5_INS6_IS9_KlLm3ESC_lEESG_SI_Lm4ESC_lEEPSA_llll.has_recursion, 0
	.set _ZN2at6native30max_unpooling3d_forward_kernelIiEEvN5torch10headeronly6detail27GenericPackedTensorAccessorINS4_14TensorAccessorIN3c108ArrayRefIlEEKT_Lm3ENS3_16DefaultPtrTraitsElEENS_6detail16IndexBoundsCheckILm4ElEESB_Lm4ESC_lEENS5_INS6_IS9_KlLm3ESC_lEESG_SI_Lm4ESC_lEEPSA_llll.has_indirect_call, 0
	.section	.AMDGPU.csdata,"",@progbits
; Kernel info:
; codeLenInByte = 1364
; TotalNumSgprs: 32
; NumVgprs: 11
; ScratchSize: 0
; MemoryBound: 0
; FloatMode: 240
; IeeeMode: 1
; LDSByteSize: 0 bytes/workgroup (compile time only)
; SGPRBlocks: 3
; VGPRBlocks: 2
; NumSGPRsForWavesPerEU: 32
; NumVGPRsForWavesPerEU: 11
; Occupancy: 10
; WaveLimiterHint : 1
; COMPUTE_PGM_RSRC2:SCRATCH_EN: 0
; COMPUTE_PGM_RSRC2:USER_SGPR: 6
; COMPUTE_PGM_RSRC2:TRAP_HANDLER: 0
; COMPUTE_PGM_RSRC2:TGID_X_EN: 1
; COMPUTE_PGM_RSRC2:TGID_Y_EN: 1
; COMPUTE_PGM_RSRC2:TGID_Z_EN: 1
; COMPUTE_PGM_RSRC2:TIDIG_COMP_CNT: 1
	.section	.text._ZN2at6native30max_unpooling3d_forward_kernelIlEEvN5torch10headeronly6detail27GenericPackedTensorAccessorINS4_14TensorAccessorIN3c108ArrayRefIlEEKT_Lm3ENS3_16DefaultPtrTraitsElEENS_6detail16IndexBoundsCheckILm4ElEESB_Lm4ESC_lEENS5_INS6_IS9_KlLm3ESC_lEESG_SI_Lm4ESC_lEEPSA_llll,"axG",@progbits,_ZN2at6native30max_unpooling3d_forward_kernelIlEEvN5torch10headeronly6detail27GenericPackedTensorAccessorINS4_14TensorAccessorIN3c108ArrayRefIlEEKT_Lm3ENS3_16DefaultPtrTraitsElEENS_6detail16IndexBoundsCheckILm4ElEESB_Lm4ESC_lEENS5_INS6_IS9_KlLm3ESC_lEESG_SI_Lm4ESC_lEEPSA_llll,comdat
	.protected	_ZN2at6native30max_unpooling3d_forward_kernelIlEEvN5torch10headeronly6detail27GenericPackedTensorAccessorINS4_14TensorAccessorIN3c108ArrayRefIlEEKT_Lm3ENS3_16DefaultPtrTraitsElEENS_6detail16IndexBoundsCheckILm4ElEESB_Lm4ESC_lEENS5_INS6_IS9_KlLm3ESC_lEESG_SI_Lm4ESC_lEEPSA_llll ; -- Begin function _ZN2at6native30max_unpooling3d_forward_kernelIlEEvN5torch10headeronly6detail27GenericPackedTensorAccessorINS4_14TensorAccessorIN3c108ArrayRefIlEEKT_Lm3ENS3_16DefaultPtrTraitsElEENS_6detail16IndexBoundsCheckILm4ElEESB_Lm4ESC_lEENS5_INS6_IS9_KlLm3ESC_lEESG_SI_Lm4ESC_lEEPSA_llll
	.globl	_ZN2at6native30max_unpooling3d_forward_kernelIlEEvN5torch10headeronly6detail27GenericPackedTensorAccessorINS4_14TensorAccessorIN3c108ArrayRefIlEEKT_Lm3ENS3_16DefaultPtrTraitsElEENS_6detail16IndexBoundsCheckILm4ElEESB_Lm4ESC_lEENS5_INS6_IS9_KlLm3ESC_lEESG_SI_Lm4ESC_lEEPSA_llll
	.p2align	8
	.type	_ZN2at6native30max_unpooling3d_forward_kernelIlEEvN5torch10headeronly6detail27GenericPackedTensorAccessorINS4_14TensorAccessorIN3c108ArrayRefIlEEKT_Lm3ENS3_16DefaultPtrTraitsElEENS_6detail16IndexBoundsCheckILm4ElEESB_Lm4ESC_lEENS5_INS6_IS9_KlLm3ESC_lEESG_SI_Lm4ESC_lEEPSA_llll,@function
_ZN2at6native30max_unpooling3d_forward_kernelIlEEvN5torch10headeronly6detail27GenericPackedTensorAccessorINS4_14TensorAccessorIN3c108ArrayRefIlEEKT_Lm3ENS3_16DefaultPtrTraitsElEENS_6detail16IndexBoundsCheckILm4ElEESB_Lm4ESC_lEENS5_INS6_IS9_KlLm3ESC_lEESG_SI_Lm4ESC_lEEPSA_llll: ; @_ZN2at6native30max_unpooling3d_forward_kernelIlEEvN5torch10headeronly6detail27GenericPackedTensorAccessorINS4_14TensorAccessorIN3c108ArrayRefIlEEKT_Lm3ENS3_16DefaultPtrTraitsElEENS_6detail16IndexBoundsCheckILm4ElEESB_Lm4ESC_lEENS5_INS6_IS9_KlLm3ESC_lEESG_SI_Lm4ESC_lEEPSA_llll
; %bb.0:
	s_load_dwordx2 s[0:1], s[4:5], 0xb0
	s_load_dwordx2 s[24:25], s[4:5], 0x10
	s_mov_b32 s10, 0
	v_mov_b32_e32 v2, v1
	s_waitcnt lgkmcnt(0)
	s_add_u32 s2, s0, s8
	s_addc_u32 s3, s1, 0
	s_or_b64 s[0:1], s[2:3], s[24:25]
	s_mov_b32 s11, s1
	s_cmp_lg_u64 s[10:11], 0
	s_cbranch_scc0 .LBB12_8
; %bb.1:
	s_ashr_i32 s8, s25, 31
	s_add_u32 s0, s24, s8
	s_mov_b32 s9, s8
	s_addc_u32 s1, s25, s8
	s_xor_b64 s[10:11], s[0:1], s[8:9]
	v_cvt_f32_u32_e32 v1, s10
	v_cvt_f32_u32_e32 v3, s11
	s_sub_u32 s14, 0, s10
	s_subb_u32 s15, 0, s11
	v_madmk_f32 v1, v3, 0x4f800000, v1
	v_rcp_f32_e32 v1, v1
	v_mul_f32_e32 v1, 0x5f7ffffc, v1
	v_mul_f32_e32 v3, 0x2f800000, v1
	v_trunc_f32_e32 v3, v3
	v_madmk_f32 v1, v3, 0xcf800000, v1
	v_cvt_u32_f32_e32 v3, v3
	v_cvt_u32_f32_e32 v1, v1
	v_readfirstlane_b32 s16, v3
	v_readfirstlane_b32 s12, v1
	s_mul_i32 s13, s14, s16
	s_mul_hi_u32 s18, s14, s12
	s_mul_i32 s17, s15, s12
	s_add_i32 s13, s18, s13
	s_add_i32 s13, s13, s17
	s_mul_i32 s19, s14, s12
	s_mul_i32 s18, s12, s13
	s_mul_hi_u32 s20, s12, s19
	s_mul_hi_u32 s17, s12, s13
	s_add_u32 s18, s20, s18
	s_addc_u32 s17, 0, s17
	s_mul_hi_u32 s21, s16, s19
	s_mul_i32 s19, s16, s19
	s_add_u32 s18, s18, s19
	s_mul_hi_u32 s20, s16, s13
	s_addc_u32 s17, s17, s21
	s_addc_u32 s18, s20, 0
	s_mul_i32 s13, s16, s13
	s_add_u32 s13, s17, s13
	s_addc_u32 s17, 0, s18
	s_add_u32 s18, s12, s13
	s_cselect_b64 s[12:13], -1, 0
	s_cmp_lg_u64 s[12:13], 0
	s_addc_u32 s16, s16, s17
	s_mul_i32 s12, s14, s16
	s_mul_hi_u32 s13, s14, s18
	s_add_i32 s12, s13, s12
	s_mul_i32 s15, s15, s18
	s_add_i32 s12, s12, s15
	s_mul_i32 s14, s14, s18
	s_mul_hi_u32 s15, s16, s14
	s_mul_i32 s17, s16, s14
	s_mul_i32 s20, s18, s12
	s_mul_hi_u32 s14, s18, s14
	s_mul_hi_u32 s19, s18, s12
	s_add_u32 s14, s14, s20
	s_addc_u32 s19, 0, s19
	s_add_u32 s14, s14, s17
	s_mul_hi_u32 s13, s16, s12
	s_addc_u32 s14, s19, s15
	s_addc_u32 s13, s13, 0
	s_mul_i32 s12, s16, s12
	s_add_u32 s12, s14, s12
	s_addc_u32 s14, 0, s13
	s_add_u32 s17, s18, s12
	s_cselect_b64 s[12:13], -1, 0
	s_cmp_lg_u64 s[12:13], 0
	s_addc_u32 s16, s16, s14
	s_ashr_i32 s12, s3, 31
	s_add_u32 s14, s2, s12
	s_mov_b32 s13, s12
	s_addc_u32 s15, s3, s12
	s_xor_b64 s[14:15], s[14:15], s[12:13]
	s_mul_i32 s19, s14, s16
	s_mul_hi_u32 s20, s14, s17
	s_mul_hi_u32 s18, s14, s16
	s_add_u32 s19, s20, s19
	s_addc_u32 s18, 0, s18
	s_mul_hi_u32 s21, s15, s17
	s_mul_i32 s17, s15, s17
	s_add_u32 s17, s19, s17
	s_mul_hi_u32 s20, s15, s16
	s_addc_u32 s17, s18, s21
	s_addc_u32 s18, s20, 0
	s_mul_i32 s16, s15, s16
	s_add_u32 s20, s17, s16
	s_addc_u32 s21, 0, s18
	s_mul_i32 s16, s10, s21
	s_mul_hi_u32 s17, s10, s20
	s_add_i32 s16, s17, s16
	s_mul_i32 s17, s11, s20
	s_add_i32 s22, s16, s17
	s_sub_i32 s18, s15, s22
	s_mul_i32 s16, s10, s20
	s_sub_u32 s14, s14, s16
	s_cselect_b64 s[16:17], -1, 0
	s_cmp_lg_u64 s[16:17], 0
	s_subb_u32 s23, s18, s11
	s_sub_u32 s26, s14, s10
	s_cselect_b64 s[18:19], -1, 0
	s_cmp_lg_u64 s[18:19], 0
	s_subb_u32 s18, s23, 0
	s_cmp_ge_u32 s18, s11
	s_cselect_b32 s19, -1, 0
	s_cmp_ge_u32 s26, s10
	s_cselect_b32 s23, -1, 0
	s_cmp_eq_u32 s18, s11
	s_cselect_b32 s18, s23, s19
	s_add_u32 s19, s20, 1
	s_addc_u32 s23, s21, 0
	s_add_u32 s26, s20, 2
	s_addc_u32 s27, s21, 0
	s_cmp_lg_u32 s18, 0
	s_cselect_b32 s18, s26, s19
	s_cselect_b32 s19, s27, s23
	s_cmp_lg_u64 s[16:17], 0
	s_subb_u32 s15, s15, s22
	s_cmp_ge_u32 s15, s11
	s_cselect_b32 s16, -1, 0
	s_cmp_ge_u32 s14, s10
	s_cselect_b32 s10, -1, 0
	s_cmp_eq_u32 s15, s11
	s_cselect_b32 s10, s10, s16
	s_cmp_lg_u32 s10, 0
	s_cselect_b32 s11, s19, s21
	s_cselect_b32 s10, s18, s20
	s_xor_b64 s[8:9], s[12:13], s[8:9]
	s_xor_b64 s[10:11], s[10:11], s[8:9]
	s_sub_u32 s26, s10, s8
	s_subb_u32 s27, s11, s9
	s_load_dword s8, s[4:5], 0xc4
	s_cbranch_execnz .LBB12_3
.LBB12_2:
	v_cvt_f32_u32_e32 v1, s24
	s_sub_i32 s0, 0, s24
	s_mov_b32 s27, 0
	v_rcp_iflag_f32_e32 v1, v1
	v_mul_f32_e32 v1, 0x4f7ffffe, v1
	v_cvt_u32_f32_e32 v1, v1
	v_readfirstlane_b32 s1, v1
	s_mul_i32 s0, s0, s1
	s_mul_hi_u32 s0, s1, s0
	s_add_i32 s1, s1, s0
	s_mul_hi_u32 s0, s2, s1
	s_mul_i32 s9, s0, s24
	s_sub_i32 s9, s2, s9
	s_add_i32 s1, s0, 1
	s_sub_i32 s10, s9, s24
	s_cmp_ge_u32 s9, s24
	s_cselect_b32 s0, s1, s0
	s_cselect_b32 s9, s10, s9
	s_add_i32 s1, s0, 1
	s_cmp_ge_u32 s9, s24
	s_cselect_b32 s26, s1, s0
.LBB12_3:
	s_waitcnt lgkmcnt(0)
	s_lshr_b32 s12, s8, 16
	v_mov_b32_e32 v1, 0
	s_and_b32 s0, s8, 0xffff
	v_mov_b32_e32 v3, s6
	s_load_dwordx4 s[8:11], s[4:5], 0x18
	v_mad_u64_u32 v[3:4], s[0:1], s0, v3, v[0:1]
	s_mul_i32 s7, s7, s12
	v_add_u32_e32 v0, s7, v2
	s_waitcnt lgkmcnt(0)
	v_cmp_gt_i64_e32 vcc, s[8:9], v[0:1]
	v_cmp_gt_i64_e64 s[0:1], s[10:11], v[3:4]
	s_and_b64 s[0:1], vcc, s[0:1]
	s_and_saveexec_b64 s[6:7], s[0:1]
	s_cbranch_execz .LBB12_7
; %bb.4:
	s_load_dwordx8 s[8:15], s[4:5], 0x90
	s_load_dwordx8 s[16:23], s[4:5], 0x70
	s_waitcnt lgkmcnt(0)
	s_mul_i32 s0, s12, s11
	s_mul_hi_u32 s1, s12, s10
	s_mul_i32 s6, s13, s10
	s_mul_i32 s12, s12, s10
	s_add_i32 s0, s1, s0
	s_mul_i32 s1, s12, s15
	s_add_i32 s0, s0, s6
	s_mul_hi_u32 s6, s12, s14
	s_add_i32 s1, s6, s1
	s_mul_i32 s0, s0, s14
	s_add_i32 s7, s1, s0
	s_mul_i32 s0, s26, s25
	s_mul_hi_u32 s1, s26, s24
	s_add_i32 s0, s1, s0
	s_mul_i32 s1, s27, s24
	s_add_i32 s0, s0, s1
	s_mul_i32 s1, s26, s24
	s_sub_u32 s2, s2, s1
	s_subb_u32 s3, s3, s0
	s_load_dwordx2 s[0:1], s[4:5], 0x48
	s_mul_i32 s6, s16, s27
	s_mul_hi_u32 s10, s16, s26
	s_add_i32 s6, s10, s6
	s_mul_i32 s10, s17, s26
	s_add_i32 s11, s6, s10
	s_mul_i32 s10, s16, s26
	s_lshl_b64 s[10:11], s[10:11], 3
	s_waitcnt lgkmcnt(0)
	s_add_u32 s6, s0, s10
	s_addc_u32 s13, s1, s11
	s_mul_i32 s0, s18, s3
	s_mul_hi_u32 s1, s18, s2
	s_add_i32 s10, s1, s0
	v_mad_u64_u32 v[1:2], s[0:1], s20, v0, 0
	s_mul_i32 s0, s19, s2
	s_add_i32 s1, s10, s0
	s_mul_i32 s0, s18, s2
	v_mad_u64_u32 v[5:6], s[10:11], s21, v0, v[2:3]
	s_lshl_b64 s[0:1], s[0:1], 3
	s_add_u32 s6, s6, s0
	s_addc_u32 s0, s13, s1
	v_mov_b32_e32 v2, v5
	v_mov_b32_e32 v7, s0
	v_mul_lo_u32 v8, s23, v3
	v_mul_lo_u32 v9, s22, v4
	v_mad_u64_u32 v[5:6], s[0:1], s22, v3, 0
	v_lshlrev_b64 v[1:2], 3, v[1:2]
	v_add_co_u32_e32 v10, vcc, s6, v1
	v_add3_u32 v6, v6, v9, v8
	v_addc_co_u32_e32 v7, vcc, v7, v2, vcc
	v_lshlrev_b64 v[1:2], 3, v[5:6]
	s_mul_i32 s6, s12, s14
	v_add_co_u32_e32 v1, vcc, v10, v1
	v_addc_co_u32_e32 v2, vcc, v7, v2, vcc
	global_load_dwordx2 v[1:2], v[1:2], off
	s_waitcnt vmcnt(0)
	v_cmp_lt_i64_e32 vcc, -1, v[1:2]
	v_cmp_gt_i64_e64 s[0:1], s[6:7], v[1:2]
	s_and_b64 s[0:1], vcc, s[0:1]
	s_and_saveexec_b64 s[10:11], s[0:1]
	s_xor_b64 s[0:1], exec, s[10:11]
	s_cbranch_execz .LBB12_6
; %bb.5:
	s_load_dwordx8 s[12:19], s[4:5], 0x28
	s_load_dwordx2 s[10:11], s[4:5], 0x0
	s_waitcnt lgkmcnt(0)
	s_mul_i32 s5, s12, s27
	s_mul_hi_u32 s20, s12, s26
	s_mul_i32 s13, s13, s26
	s_add_i32 s5, s20, s5
	s_mul_i32 s4, s12, s26
	s_add_i32 s5, s5, s13
	s_lshl_b64 s[4:5], s[4:5], 3
	s_add_u32 s10, s10, s4
	s_mul_i32 s3, s14, s3
	s_mul_hi_u32 s4, s14, s2
	s_addc_u32 s11, s11, s5
	s_add_i32 s3, s4, s3
	v_mad_u64_u32 v[5:6], s[4:5], s16, v0, 0
	s_mul_i32 s4, s15, s2
	s_add_i32 s3, s3, s4
	s_mul_i32 s2, s14, s2
	v_mad_u64_u32 v[6:7], s[4:5], s17, v0, v[6:7]
	s_lshl_b64 s[2:3], s[2:3], 3
	s_add_u32 s4, s10, s2
	s_addc_u32 s2, s11, s3
	v_mov_b32_e32 v0, s2
	v_mul_lo_u32 v7, s19, v3
	v_mul_lo_u32 v8, s18, v4
	v_mad_u64_u32 v[3:4], s[2:3], s18, v3, 0
	v_lshlrev_b64 v[5:6], 3, v[5:6]
	s_mul_i32 s2, s6, s27
	v_add3_u32 v4, v4, v8, v7
	v_add_co_u32_e32 v5, vcc, s4, v5
	v_lshlrev_b64 v[3:4], 3, v[3:4]
	v_addc_co_u32_e32 v0, vcc, v0, v6, vcc
	v_add_co_u32_e32 v3, vcc, v5, v3
	v_addc_co_u32_e32 v4, vcc, v0, v4, vcc
	global_load_dwordx2 v[3:4], v[3:4], off
	s_mul_hi_u32 s3, s6, s26
	s_add_i32 s2, s3, s2
	s_mul_i32 s3, s7, s26
	s_add_i32 s3, s2, s3
	s_mul_i32 s2, s6, s26
	s_lshl_b64 s[2:3], s[2:3], 3
	s_add_u32 s2, s8, s2
	v_lshlrev_b64 v[0:1], 3, v[1:2]
	s_addc_u32 s3, s9, s3
	v_mov_b32_e32 v2, s3
	v_add_co_u32_e32 v0, vcc, s2, v0
	v_addc_co_u32_e32 v1, vcc, v2, v1, vcc
	s_waitcnt vmcnt(0)
	global_store_dwordx2 v[0:1], v[3:4], off
.LBB12_6:
	s_andn2_saveexec_b64 s[0:1], s[0:1]
	s_cbranch_execnz .LBB12_9
.LBB12_7:
	s_endpgm
.LBB12_8:
                                        ; implicit-def: $sgpr26_sgpr27
	s_load_dword s8, s[4:5], 0xc4
	s_branch .LBB12_2
.LBB12_9:
	s_trap 2
	; divergent unreachable
	s_endpgm
	.section	.rodata,"a",@progbits
	.p2align	6, 0x0
	.amdhsa_kernel _ZN2at6native30max_unpooling3d_forward_kernelIlEEvN5torch10headeronly6detail27GenericPackedTensorAccessorINS4_14TensorAccessorIN3c108ArrayRefIlEEKT_Lm3ENS3_16DefaultPtrTraitsElEENS_6detail16IndexBoundsCheckILm4ElEESB_Lm4ESC_lEENS5_INS6_IS9_KlLm3ESC_lEESG_SI_Lm4ESC_lEEPSA_llll
		.amdhsa_group_segment_fixed_size 0
		.amdhsa_private_segment_fixed_size 0
		.amdhsa_kernarg_size 440
		.amdhsa_user_sgpr_count 6
		.amdhsa_user_sgpr_private_segment_buffer 1
		.amdhsa_user_sgpr_dispatch_ptr 0
		.amdhsa_user_sgpr_queue_ptr 0
		.amdhsa_user_sgpr_kernarg_segment_ptr 1
		.amdhsa_user_sgpr_dispatch_id 0
		.amdhsa_user_sgpr_flat_scratch_init 0
		.amdhsa_user_sgpr_private_segment_size 0
		.amdhsa_uses_dynamic_stack 0
		.amdhsa_system_sgpr_private_segment_wavefront_offset 0
		.amdhsa_system_sgpr_workgroup_id_x 1
		.amdhsa_system_sgpr_workgroup_id_y 1
		.amdhsa_system_sgpr_workgroup_id_z 1
		.amdhsa_system_sgpr_workgroup_info 0
		.amdhsa_system_vgpr_workitem_id 1
		.amdhsa_next_free_vgpr 11
		.amdhsa_next_free_sgpr 28
		.amdhsa_reserve_vcc 1
		.amdhsa_reserve_flat_scratch 0
		.amdhsa_float_round_mode_32 0
		.amdhsa_float_round_mode_16_64 0
		.amdhsa_float_denorm_mode_32 3
		.amdhsa_float_denorm_mode_16_64 3
		.amdhsa_dx10_clamp 1
		.amdhsa_ieee_mode 1
		.amdhsa_fp16_overflow 0
		.amdhsa_exception_fp_ieee_invalid_op 0
		.amdhsa_exception_fp_denorm_src 0
		.amdhsa_exception_fp_ieee_div_zero 0
		.amdhsa_exception_fp_ieee_overflow 0
		.amdhsa_exception_fp_ieee_underflow 0
		.amdhsa_exception_fp_ieee_inexact 0
		.amdhsa_exception_int_div_zero 0
	.end_amdhsa_kernel
	.section	.text._ZN2at6native30max_unpooling3d_forward_kernelIlEEvN5torch10headeronly6detail27GenericPackedTensorAccessorINS4_14TensorAccessorIN3c108ArrayRefIlEEKT_Lm3ENS3_16DefaultPtrTraitsElEENS_6detail16IndexBoundsCheckILm4ElEESB_Lm4ESC_lEENS5_INS6_IS9_KlLm3ESC_lEESG_SI_Lm4ESC_lEEPSA_llll,"axG",@progbits,_ZN2at6native30max_unpooling3d_forward_kernelIlEEvN5torch10headeronly6detail27GenericPackedTensorAccessorINS4_14TensorAccessorIN3c108ArrayRefIlEEKT_Lm3ENS3_16DefaultPtrTraitsElEENS_6detail16IndexBoundsCheckILm4ElEESB_Lm4ESC_lEENS5_INS6_IS9_KlLm3ESC_lEESG_SI_Lm4ESC_lEEPSA_llll,comdat
.Lfunc_end12:
	.size	_ZN2at6native30max_unpooling3d_forward_kernelIlEEvN5torch10headeronly6detail27GenericPackedTensorAccessorINS4_14TensorAccessorIN3c108ArrayRefIlEEKT_Lm3ENS3_16DefaultPtrTraitsElEENS_6detail16IndexBoundsCheckILm4ElEESB_Lm4ESC_lEENS5_INS6_IS9_KlLm3ESC_lEESG_SI_Lm4ESC_lEEPSA_llll, .Lfunc_end12-_ZN2at6native30max_unpooling3d_forward_kernelIlEEvN5torch10headeronly6detail27GenericPackedTensorAccessorINS4_14TensorAccessorIN3c108ArrayRefIlEEKT_Lm3ENS3_16DefaultPtrTraitsElEENS_6detail16IndexBoundsCheckILm4ElEESB_Lm4ESC_lEENS5_INS6_IS9_KlLm3ESC_lEESG_SI_Lm4ESC_lEEPSA_llll
                                        ; -- End function
	.set _ZN2at6native30max_unpooling3d_forward_kernelIlEEvN5torch10headeronly6detail27GenericPackedTensorAccessorINS4_14TensorAccessorIN3c108ArrayRefIlEEKT_Lm3ENS3_16DefaultPtrTraitsElEENS_6detail16IndexBoundsCheckILm4ElEESB_Lm4ESC_lEENS5_INS6_IS9_KlLm3ESC_lEESG_SI_Lm4ESC_lEEPSA_llll.num_vgpr, 11
	.set _ZN2at6native30max_unpooling3d_forward_kernelIlEEvN5torch10headeronly6detail27GenericPackedTensorAccessorINS4_14TensorAccessorIN3c108ArrayRefIlEEKT_Lm3ENS3_16DefaultPtrTraitsElEENS_6detail16IndexBoundsCheckILm4ElEESB_Lm4ESC_lEENS5_INS6_IS9_KlLm3ESC_lEESG_SI_Lm4ESC_lEEPSA_llll.num_agpr, 0
	.set _ZN2at6native30max_unpooling3d_forward_kernelIlEEvN5torch10headeronly6detail27GenericPackedTensorAccessorINS4_14TensorAccessorIN3c108ArrayRefIlEEKT_Lm3ENS3_16DefaultPtrTraitsElEENS_6detail16IndexBoundsCheckILm4ElEESB_Lm4ESC_lEENS5_INS6_IS9_KlLm3ESC_lEESG_SI_Lm4ESC_lEEPSA_llll.numbered_sgpr, 28
	.set _ZN2at6native30max_unpooling3d_forward_kernelIlEEvN5torch10headeronly6detail27GenericPackedTensorAccessorINS4_14TensorAccessorIN3c108ArrayRefIlEEKT_Lm3ENS3_16DefaultPtrTraitsElEENS_6detail16IndexBoundsCheckILm4ElEESB_Lm4ESC_lEENS5_INS6_IS9_KlLm3ESC_lEESG_SI_Lm4ESC_lEEPSA_llll.num_named_barrier, 0
	.set _ZN2at6native30max_unpooling3d_forward_kernelIlEEvN5torch10headeronly6detail27GenericPackedTensorAccessorINS4_14TensorAccessorIN3c108ArrayRefIlEEKT_Lm3ENS3_16DefaultPtrTraitsElEENS_6detail16IndexBoundsCheckILm4ElEESB_Lm4ESC_lEENS5_INS6_IS9_KlLm3ESC_lEESG_SI_Lm4ESC_lEEPSA_llll.private_seg_size, 0
	.set _ZN2at6native30max_unpooling3d_forward_kernelIlEEvN5torch10headeronly6detail27GenericPackedTensorAccessorINS4_14TensorAccessorIN3c108ArrayRefIlEEKT_Lm3ENS3_16DefaultPtrTraitsElEENS_6detail16IndexBoundsCheckILm4ElEESB_Lm4ESC_lEENS5_INS6_IS9_KlLm3ESC_lEESG_SI_Lm4ESC_lEEPSA_llll.uses_vcc, 1
	.set _ZN2at6native30max_unpooling3d_forward_kernelIlEEvN5torch10headeronly6detail27GenericPackedTensorAccessorINS4_14TensorAccessorIN3c108ArrayRefIlEEKT_Lm3ENS3_16DefaultPtrTraitsElEENS_6detail16IndexBoundsCheckILm4ElEESB_Lm4ESC_lEENS5_INS6_IS9_KlLm3ESC_lEESG_SI_Lm4ESC_lEEPSA_llll.uses_flat_scratch, 0
	.set _ZN2at6native30max_unpooling3d_forward_kernelIlEEvN5torch10headeronly6detail27GenericPackedTensorAccessorINS4_14TensorAccessorIN3c108ArrayRefIlEEKT_Lm3ENS3_16DefaultPtrTraitsElEENS_6detail16IndexBoundsCheckILm4ElEESB_Lm4ESC_lEENS5_INS6_IS9_KlLm3ESC_lEESG_SI_Lm4ESC_lEEPSA_llll.has_dyn_sized_stack, 0
	.set _ZN2at6native30max_unpooling3d_forward_kernelIlEEvN5torch10headeronly6detail27GenericPackedTensorAccessorINS4_14TensorAccessorIN3c108ArrayRefIlEEKT_Lm3ENS3_16DefaultPtrTraitsElEENS_6detail16IndexBoundsCheckILm4ElEESB_Lm4ESC_lEENS5_INS6_IS9_KlLm3ESC_lEESG_SI_Lm4ESC_lEEPSA_llll.has_recursion, 0
	.set _ZN2at6native30max_unpooling3d_forward_kernelIlEEvN5torch10headeronly6detail27GenericPackedTensorAccessorINS4_14TensorAccessorIN3c108ArrayRefIlEEKT_Lm3ENS3_16DefaultPtrTraitsElEENS_6detail16IndexBoundsCheckILm4ElEESB_Lm4ESC_lEENS5_INS6_IS9_KlLm3ESC_lEESG_SI_Lm4ESC_lEEPSA_llll.has_indirect_call, 0
	.section	.AMDGPU.csdata,"",@progbits
; Kernel info:
; codeLenInByte = 1364
; TotalNumSgprs: 32
; NumVgprs: 11
; ScratchSize: 0
; MemoryBound: 0
; FloatMode: 240
; IeeeMode: 1
; LDSByteSize: 0 bytes/workgroup (compile time only)
; SGPRBlocks: 3
; VGPRBlocks: 2
; NumSGPRsForWavesPerEU: 32
; NumVGPRsForWavesPerEU: 11
; Occupancy: 10
; WaveLimiterHint : 1
; COMPUTE_PGM_RSRC2:SCRATCH_EN: 0
; COMPUTE_PGM_RSRC2:USER_SGPR: 6
; COMPUTE_PGM_RSRC2:TRAP_HANDLER: 0
; COMPUTE_PGM_RSRC2:TGID_X_EN: 1
; COMPUTE_PGM_RSRC2:TGID_Y_EN: 1
; COMPUTE_PGM_RSRC2:TGID_Z_EN: 1
; COMPUTE_PGM_RSRC2:TIDIG_COMP_CNT: 1
	.section	.text._ZN2at6native30max_unpooling3d_forward_kernelIsEEvN5torch10headeronly6detail27GenericPackedTensorAccessorINS4_14TensorAccessorIN3c108ArrayRefIlEEKT_Lm3ENS3_16DefaultPtrTraitsElEENS_6detail16IndexBoundsCheckILm4ElEESB_Lm4ESC_lEENS5_INS6_IS9_KlLm3ESC_lEESG_SI_Lm4ESC_lEEPSA_llll,"axG",@progbits,_ZN2at6native30max_unpooling3d_forward_kernelIsEEvN5torch10headeronly6detail27GenericPackedTensorAccessorINS4_14TensorAccessorIN3c108ArrayRefIlEEKT_Lm3ENS3_16DefaultPtrTraitsElEENS_6detail16IndexBoundsCheckILm4ElEESB_Lm4ESC_lEENS5_INS6_IS9_KlLm3ESC_lEESG_SI_Lm4ESC_lEEPSA_llll,comdat
	.protected	_ZN2at6native30max_unpooling3d_forward_kernelIsEEvN5torch10headeronly6detail27GenericPackedTensorAccessorINS4_14TensorAccessorIN3c108ArrayRefIlEEKT_Lm3ENS3_16DefaultPtrTraitsElEENS_6detail16IndexBoundsCheckILm4ElEESB_Lm4ESC_lEENS5_INS6_IS9_KlLm3ESC_lEESG_SI_Lm4ESC_lEEPSA_llll ; -- Begin function _ZN2at6native30max_unpooling3d_forward_kernelIsEEvN5torch10headeronly6detail27GenericPackedTensorAccessorINS4_14TensorAccessorIN3c108ArrayRefIlEEKT_Lm3ENS3_16DefaultPtrTraitsElEENS_6detail16IndexBoundsCheckILm4ElEESB_Lm4ESC_lEENS5_INS6_IS9_KlLm3ESC_lEESG_SI_Lm4ESC_lEEPSA_llll
	.globl	_ZN2at6native30max_unpooling3d_forward_kernelIsEEvN5torch10headeronly6detail27GenericPackedTensorAccessorINS4_14TensorAccessorIN3c108ArrayRefIlEEKT_Lm3ENS3_16DefaultPtrTraitsElEENS_6detail16IndexBoundsCheckILm4ElEESB_Lm4ESC_lEENS5_INS6_IS9_KlLm3ESC_lEESG_SI_Lm4ESC_lEEPSA_llll
	.p2align	8
	.type	_ZN2at6native30max_unpooling3d_forward_kernelIsEEvN5torch10headeronly6detail27GenericPackedTensorAccessorINS4_14TensorAccessorIN3c108ArrayRefIlEEKT_Lm3ENS3_16DefaultPtrTraitsElEENS_6detail16IndexBoundsCheckILm4ElEESB_Lm4ESC_lEENS5_INS6_IS9_KlLm3ESC_lEESG_SI_Lm4ESC_lEEPSA_llll,@function
_ZN2at6native30max_unpooling3d_forward_kernelIsEEvN5torch10headeronly6detail27GenericPackedTensorAccessorINS4_14TensorAccessorIN3c108ArrayRefIlEEKT_Lm3ENS3_16DefaultPtrTraitsElEENS_6detail16IndexBoundsCheckILm4ElEESB_Lm4ESC_lEENS5_INS6_IS9_KlLm3ESC_lEESG_SI_Lm4ESC_lEEPSA_llll: ; @_ZN2at6native30max_unpooling3d_forward_kernelIsEEvN5torch10headeronly6detail27GenericPackedTensorAccessorINS4_14TensorAccessorIN3c108ArrayRefIlEEKT_Lm3ENS3_16DefaultPtrTraitsElEENS_6detail16IndexBoundsCheckILm4ElEESB_Lm4ESC_lEENS5_INS6_IS9_KlLm3ESC_lEESG_SI_Lm4ESC_lEEPSA_llll
; %bb.0:
	s_load_dwordx2 s[0:1], s[4:5], 0xb0
	s_load_dwordx2 s[24:25], s[4:5], 0x10
	s_mov_b32 s10, 0
	v_mov_b32_e32 v2, v1
	s_waitcnt lgkmcnt(0)
	s_add_u32 s2, s0, s8
	s_addc_u32 s3, s1, 0
	s_or_b64 s[0:1], s[2:3], s[24:25]
	s_mov_b32 s11, s1
	s_cmp_lg_u64 s[10:11], 0
	s_cbranch_scc0 .LBB13_8
; %bb.1:
	s_ashr_i32 s8, s25, 31
	s_add_u32 s0, s24, s8
	s_mov_b32 s9, s8
	s_addc_u32 s1, s25, s8
	s_xor_b64 s[10:11], s[0:1], s[8:9]
	v_cvt_f32_u32_e32 v1, s10
	v_cvt_f32_u32_e32 v3, s11
	s_sub_u32 s14, 0, s10
	s_subb_u32 s15, 0, s11
	v_madmk_f32 v1, v3, 0x4f800000, v1
	v_rcp_f32_e32 v1, v1
	v_mul_f32_e32 v1, 0x5f7ffffc, v1
	v_mul_f32_e32 v3, 0x2f800000, v1
	v_trunc_f32_e32 v3, v3
	v_madmk_f32 v1, v3, 0xcf800000, v1
	v_cvt_u32_f32_e32 v3, v3
	v_cvt_u32_f32_e32 v1, v1
	v_readfirstlane_b32 s16, v3
	v_readfirstlane_b32 s12, v1
	s_mul_i32 s13, s14, s16
	s_mul_hi_u32 s18, s14, s12
	s_mul_i32 s17, s15, s12
	s_add_i32 s13, s18, s13
	s_add_i32 s13, s13, s17
	s_mul_i32 s19, s14, s12
	s_mul_i32 s18, s12, s13
	s_mul_hi_u32 s20, s12, s19
	s_mul_hi_u32 s17, s12, s13
	s_add_u32 s18, s20, s18
	s_addc_u32 s17, 0, s17
	s_mul_hi_u32 s21, s16, s19
	s_mul_i32 s19, s16, s19
	s_add_u32 s18, s18, s19
	s_mul_hi_u32 s20, s16, s13
	s_addc_u32 s17, s17, s21
	s_addc_u32 s18, s20, 0
	s_mul_i32 s13, s16, s13
	s_add_u32 s13, s17, s13
	s_addc_u32 s17, 0, s18
	s_add_u32 s18, s12, s13
	s_cselect_b64 s[12:13], -1, 0
	s_cmp_lg_u64 s[12:13], 0
	s_addc_u32 s16, s16, s17
	s_mul_i32 s12, s14, s16
	s_mul_hi_u32 s13, s14, s18
	s_add_i32 s12, s13, s12
	s_mul_i32 s15, s15, s18
	s_add_i32 s12, s12, s15
	s_mul_i32 s14, s14, s18
	s_mul_hi_u32 s15, s16, s14
	s_mul_i32 s17, s16, s14
	s_mul_i32 s20, s18, s12
	s_mul_hi_u32 s14, s18, s14
	s_mul_hi_u32 s19, s18, s12
	s_add_u32 s14, s14, s20
	s_addc_u32 s19, 0, s19
	s_add_u32 s14, s14, s17
	s_mul_hi_u32 s13, s16, s12
	s_addc_u32 s14, s19, s15
	s_addc_u32 s13, s13, 0
	s_mul_i32 s12, s16, s12
	s_add_u32 s12, s14, s12
	s_addc_u32 s14, 0, s13
	s_add_u32 s17, s18, s12
	s_cselect_b64 s[12:13], -1, 0
	s_cmp_lg_u64 s[12:13], 0
	s_addc_u32 s16, s16, s14
	s_ashr_i32 s12, s3, 31
	s_add_u32 s14, s2, s12
	s_mov_b32 s13, s12
	s_addc_u32 s15, s3, s12
	s_xor_b64 s[14:15], s[14:15], s[12:13]
	s_mul_i32 s19, s14, s16
	s_mul_hi_u32 s20, s14, s17
	s_mul_hi_u32 s18, s14, s16
	s_add_u32 s19, s20, s19
	s_addc_u32 s18, 0, s18
	s_mul_hi_u32 s21, s15, s17
	s_mul_i32 s17, s15, s17
	s_add_u32 s17, s19, s17
	s_mul_hi_u32 s20, s15, s16
	s_addc_u32 s17, s18, s21
	s_addc_u32 s18, s20, 0
	s_mul_i32 s16, s15, s16
	s_add_u32 s20, s17, s16
	s_addc_u32 s21, 0, s18
	s_mul_i32 s16, s10, s21
	s_mul_hi_u32 s17, s10, s20
	s_add_i32 s16, s17, s16
	s_mul_i32 s17, s11, s20
	s_add_i32 s22, s16, s17
	s_sub_i32 s18, s15, s22
	s_mul_i32 s16, s10, s20
	s_sub_u32 s14, s14, s16
	s_cselect_b64 s[16:17], -1, 0
	s_cmp_lg_u64 s[16:17], 0
	s_subb_u32 s23, s18, s11
	s_sub_u32 s26, s14, s10
	s_cselect_b64 s[18:19], -1, 0
	s_cmp_lg_u64 s[18:19], 0
	s_subb_u32 s18, s23, 0
	s_cmp_ge_u32 s18, s11
	s_cselect_b32 s19, -1, 0
	s_cmp_ge_u32 s26, s10
	s_cselect_b32 s23, -1, 0
	s_cmp_eq_u32 s18, s11
	s_cselect_b32 s18, s23, s19
	s_add_u32 s19, s20, 1
	s_addc_u32 s23, s21, 0
	s_add_u32 s26, s20, 2
	s_addc_u32 s27, s21, 0
	s_cmp_lg_u32 s18, 0
	s_cselect_b32 s18, s26, s19
	s_cselect_b32 s19, s27, s23
	s_cmp_lg_u64 s[16:17], 0
	s_subb_u32 s15, s15, s22
	s_cmp_ge_u32 s15, s11
	s_cselect_b32 s16, -1, 0
	s_cmp_ge_u32 s14, s10
	s_cselect_b32 s10, -1, 0
	s_cmp_eq_u32 s15, s11
	s_cselect_b32 s10, s10, s16
	s_cmp_lg_u32 s10, 0
	s_cselect_b32 s11, s19, s21
	s_cselect_b32 s10, s18, s20
	s_xor_b64 s[8:9], s[12:13], s[8:9]
	s_xor_b64 s[10:11], s[10:11], s[8:9]
	s_sub_u32 s26, s10, s8
	s_subb_u32 s27, s11, s9
	s_load_dword s8, s[4:5], 0xc4
	s_cbranch_execnz .LBB13_3
.LBB13_2:
	v_cvt_f32_u32_e32 v1, s24
	s_sub_i32 s0, 0, s24
	s_mov_b32 s27, 0
	v_rcp_iflag_f32_e32 v1, v1
	v_mul_f32_e32 v1, 0x4f7ffffe, v1
	v_cvt_u32_f32_e32 v1, v1
	v_readfirstlane_b32 s1, v1
	s_mul_i32 s0, s0, s1
	s_mul_hi_u32 s0, s1, s0
	s_add_i32 s1, s1, s0
	s_mul_hi_u32 s0, s2, s1
	s_mul_i32 s9, s0, s24
	s_sub_i32 s9, s2, s9
	s_add_i32 s1, s0, 1
	s_sub_i32 s10, s9, s24
	s_cmp_ge_u32 s9, s24
	s_cselect_b32 s0, s1, s0
	s_cselect_b32 s9, s10, s9
	s_add_i32 s1, s0, 1
	s_cmp_ge_u32 s9, s24
	s_cselect_b32 s26, s1, s0
.LBB13_3:
	s_waitcnt lgkmcnt(0)
	s_lshr_b32 s12, s8, 16
	v_mov_b32_e32 v1, 0
	s_and_b32 s0, s8, 0xffff
	v_mov_b32_e32 v3, s6
	s_load_dwordx4 s[8:11], s[4:5], 0x18
	v_mad_u64_u32 v[3:4], s[0:1], s0, v3, v[0:1]
	s_mul_i32 s7, s7, s12
	v_add_u32_e32 v0, s7, v2
	s_waitcnt lgkmcnt(0)
	v_cmp_gt_i64_e32 vcc, s[8:9], v[0:1]
	v_cmp_gt_i64_e64 s[0:1], s[10:11], v[3:4]
	s_and_b64 s[0:1], vcc, s[0:1]
	s_and_saveexec_b64 s[6:7], s[0:1]
	s_cbranch_execz .LBB13_7
; %bb.4:
	s_load_dwordx8 s[8:15], s[4:5], 0x90
	s_load_dwordx8 s[16:23], s[4:5], 0x70
	s_waitcnt lgkmcnt(0)
	s_mul_i32 s0, s12, s11
	s_mul_hi_u32 s1, s12, s10
	s_mul_i32 s6, s13, s10
	s_mul_i32 s12, s12, s10
	s_add_i32 s0, s1, s0
	s_mul_i32 s1, s12, s15
	s_add_i32 s0, s0, s6
	s_mul_hi_u32 s6, s12, s14
	s_add_i32 s1, s6, s1
	s_mul_i32 s0, s0, s14
	s_add_i32 s7, s1, s0
	s_mul_i32 s0, s26, s25
	s_mul_hi_u32 s1, s26, s24
	s_add_i32 s0, s1, s0
	s_mul_i32 s1, s27, s24
	s_add_i32 s0, s0, s1
	s_mul_i32 s1, s26, s24
	s_sub_u32 s2, s2, s1
	s_subb_u32 s3, s3, s0
	s_load_dwordx2 s[0:1], s[4:5], 0x48
	s_mul_i32 s6, s16, s27
	s_mul_hi_u32 s10, s16, s26
	s_add_i32 s6, s10, s6
	s_mul_i32 s10, s17, s26
	s_add_i32 s11, s6, s10
	s_mul_i32 s10, s16, s26
	s_lshl_b64 s[10:11], s[10:11], 3
	s_waitcnt lgkmcnt(0)
	s_add_u32 s6, s0, s10
	s_addc_u32 s13, s1, s11
	s_mul_i32 s0, s18, s3
	s_mul_hi_u32 s1, s18, s2
	s_add_i32 s10, s1, s0
	v_mad_u64_u32 v[1:2], s[0:1], s20, v0, 0
	s_mul_i32 s0, s19, s2
	s_add_i32 s1, s10, s0
	s_mul_i32 s0, s18, s2
	v_mad_u64_u32 v[5:6], s[10:11], s21, v0, v[2:3]
	s_lshl_b64 s[0:1], s[0:1], 3
	s_add_u32 s6, s6, s0
	s_addc_u32 s0, s13, s1
	v_mov_b32_e32 v2, v5
	v_mov_b32_e32 v7, s0
	v_mul_lo_u32 v8, s23, v3
	v_mul_lo_u32 v9, s22, v4
	v_mad_u64_u32 v[5:6], s[0:1], s22, v3, 0
	v_lshlrev_b64 v[1:2], 3, v[1:2]
	v_add_co_u32_e32 v10, vcc, s6, v1
	v_add3_u32 v6, v6, v9, v8
	v_addc_co_u32_e32 v7, vcc, v7, v2, vcc
	v_lshlrev_b64 v[1:2], 3, v[5:6]
	s_mul_i32 s6, s12, s14
	v_add_co_u32_e32 v1, vcc, v10, v1
	v_addc_co_u32_e32 v2, vcc, v7, v2, vcc
	global_load_dwordx2 v[1:2], v[1:2], off
	s_waitcnt vmcnt(0)
	v_cmp_lt_i64_e32 vcc, -1, v[1:2]
	v_cmp_gt_i64_e64 s[0:1], s[6:7], v[1:2]
	s_and_b64 s[0:1], vcc, s[0:1]
	s_and_saveexec_b64 s[10:11], s[0:1]
	s_xor_b64 s[0:1], exec, s[10:11]
	s_cbranch_execz .LBB13_6
; %bb.5:
	s_load_dwordx8 s[12:19], s[4:5], 0x28
	s_load_dwordx2 s[10:11], s[4:5], 0x0
	s_waitcnt lgkmcnt(0)
	s_mul_i32 s5, s12, s27
	s_mul_hi_u32 s20, s12, s26
	s_mul_i32 s13, s13, s26
	s_add_i32 s5, s20, s5
	s_mul_i32 s4, s12, s26
	s_add_i32 s5, s5, s13
	s_lshl_b64 s[4:5], s[4:5], 1
	s_add_u32 s10, s10, s4
	s_mul_i32 s3, s14, s3
	s_mul_hi_u32 s4, s14, s2
	s_addc_u32 s11, s11, s5
	s_add_i32 s3, s4, s3
	v_mad_u64_u32 v[5:6], s[4:5], s16, v0, 0
	s_mul_i32 s4, s15, s2
	s_add_i32 s3, s3, s4
	s_mul_i32 s2, s14, s2
	v_mad_u64_u32 v[6:7], s[4:5], s17, v0, v[6:7]
	s_lshl_b64 s[2:3], s[2:3], 1
	s_add_u32 s4, s10, s2
	s_addc_u32 s2, s11, s3
	v_mov_b32_e32 v0, s2
	v_mul_lo_u32 v7, s19, v3
	v_mul_lo_u32 v8, s18, v4
	v_mad_u64_u32 v[3:4], s[2:3], s18, v3, 0
	v_lshlrev_b64 v[5:6], 1, v[5:6]
	s_mul_i32 s2, s6, s27
	v_add3_u32 v4, v4, v8, v7
	v_add_co_u32_e32 v5, vcc, s4, v5
	v_lshlrev_b64 v[3:4], 1, v[3:4]
	v_addc_co_u32_e32 v0, vcc, v0, v6, vcc
	v_add_co_u32_e32 v3, vcc, v5, v3
	v_addc_co_u32_e32 v4, vcc, v0, v4, vcc
	global_load_ushort v3, v[3:4], off
	s_mul_hi_u32 s3, s6, s26
	s_add_i32 s2, s3, s2
	s_mul_i32 s3, s7, s26
	s_add_i32 s3, s2, s3
	s_mul_i32 s2, s6, s26
	s_lshl_b64 s[2:3], s[2:3], 1
	s_add_u32 s2, s8, s2
	v_lshlrev_b64 v[0:1], 1, v[1:2]
	s_addc_u32 s3, s9, s3
	v_mov_b32_e32 v2, s3
	v_add_co_u32_e32 v0, vcc, s2, v0
	v_addc_co_u32_e32 v1, vcc, v2, v1, vcc
	s_waitcnt vmcnt(0)
	global_store_short v[0:1], v3, off
.LBB13_6:
	s_andn2_saveexec_b64 s[0:1], s[0:1]
	s_cbranch_execnz .LBB13_9
.LBB13_7:
	s_endpgm
.LBB13_8:
                                        ; implicit-def: $sgpr26_sgpr27
	s_load_dword s8, s[4:5], 0xc4
	s_branch .LBB13_2
.LBB13_9:
	s_trap 2
	; divergent unreachable
	s_endpgm
	.section	.rodata,"a",@progbits
	.p2align	6, 0x0
	.amdhsa_kernel _ZN2at6native30max_unpooling3d_forward_kernelIsEEvN5torch10headeronly6detail27GenericPackedTensorAccessorINS4_14TensorAccessorIN3c108ArrayRefIlEEKT_Lm3ENS3_16DefaultPtrTraitsElEENS_6detail16IndexBoundsCheckILm4ElEESB_Lm4ESC_lEENS5_INS6_IS9_KlLm3ESC_lEESG_SI_Lm4ESC_lEEPSA_llll
		.amdhsa_group_segment_fixed_size 0
		.amdhsa_private_segment_fixed_size 0
		.amdhsa_kernarg_size 440
		.amdhsa_user_sgpr_count 6
		.amdhsa_user_sgpr_private_segment_buffer 1
		.amdhsa_user_sgpr_dispatch_ptr 0
		.amdhsa_user_sgpr_queue_ptr 0
		.amdhsa_user_sgpr_kernarg_segment_ptr 1
		.amdhsa_user_sgpr_dispatch_id 0
		.amdhsa_user_sgpr_flat_scratch_init 0
		.amdhsa_user_sgpr_private_segment_size 0
		.amdhsa_uses_dynamic_stack 0
		.amdhsa_system_sgpr_private_segment_wavefront_offset 0
		.amdhsa_system_sgpr_workgroup_id_x 1
		.amdhsa_system_sgpr_workgroup_id_y 1
		.amdhsa_system_sgpr_workgroup_id_z 1
		.amdhsa_system_sgpr_workgroup_info 0
		.amdhsa_system_vgpr_workitem_id 1
		.amdhsa_next_free_vgpr 11
		.amdhsa_next_free_sgpr 28
		.amdhsa_reserve_vcc 1
		.amdhsa_reserve_flat_scratch 0
		.amdhsa_float_round_mode_32 0
		.amdhsa_float_round_mode_16_64 0
		.amdhsa_float_denorm_mode_32 3
		.amdhsa_float_denorm_mode_16_64 3
		.amdhsa_dx10_clamp 1
		.amdhsa_ieee_mode 1
		.amdhsa_fp16_overflow 0
		.amdhsa_exception_fp_ieee_invalid_op 0
		.amdhsa_exception_fp_denorm_src 0
		.amdhsa_exception_fp_ieee_div_zero 0
		.amdhsa_exception_fp_ieee_overflow 0
		.amdhsa_exception_fp_ieee_underflow 0
		.amdhsa_exception_fp_ieee_inexact 0
		.amdhsa_exception_int_div_zero 0
	.end_amdhsa_kernel
	.section	.text._ZN2at6native30max_unpooling3d_forward_kernelIsEEvN5torch10headeronly6detail27GenericPackedTensorAccessorINS4_14TensorAccessorIN3c108ArrayRefIlEEKT_Lm3ENS3_16DefaultPtrTraitsElEENS_6detail16IndexBoundsCheckILm4ElEESB_Lm4ESC_lEENS5_INS6_IS9_KlLm3ESC_lEESG_SI_Lm4ESC_lEEPSA_llll,"axG",@progbits,_ZN2at6native30max_unpooling3d_forward_kernelIsEEvN5torch10headeronly6detail27GenericPackedTensorAccessorINS4_14TensorAccessorIN3c108ArrayRefIlEEKT_Lm3ENS3_16DefaultPtrTraitsElEENS_6detail16IndexBoundsCheckILm4ElEESB_Lm4ESC_lEENS5_INS6_IS9_KlLm3ESC_lEESG_SI_Lm4ESC_lEEPSA_llll,comdat
.Lfunc_end13:
	.size	_ZN2at6native30max_unpooling3d_forward_kernelIsEEvN5torch10headeronly6detail27GenericPackedTensorAccessorINS4_14TensorAccessorIN3c108ArrayRefIlEEKT_Lm3ENS3_16DefaultPtrTraitsElEENS_6detail16IndexBoundsCheckILm4ElEESB_Lm4ESC_lEENS5_INS6_IS9_KlLm3ESC_lEESG_SI_Lm4ESC_lEEPSA_llll, .Lfunc_end13-_ZN2at6native30max_unpooling3d_forward_kernelIsEEvN5torch10headeronly6detail27GenericPackedTensorAccessorINS4_14TensorAccessorIN3c108ArrayRefIlEEKT_Lm3ENS3_16DefaultPtrTraitsElEENS_6detail16IndexBoundsCheckILm4ElEESB_Lm4ESC_lEENS5_INS6_IS9_KlLm3ESC_lEESG_SI_Lm4ESC_lEEPSA_llll
                                        ; -- End function
	.set _ZN2at6native30max_unpooling3d_forward_kernelIsEEvN5torch10headeronly6detail27GenericPackedTensorAccessorINS4_14TensorAccessorIN3c108ArrayRefIlEEKT_Lm3ENS3_16DefaultPtrTraitsElEENS_6detail16IndexBoundsCheckILm4ElEESB_Lm4ESC_lEENS5_INS6_IS9_KlLm3ESC_lEESG_SI_Lm4ESC_lEEPSA_llll.num_vgpr, 11
	.set _ZN2at6native30max_unpooling3d_forward_kernelIsEEvN5torch10headeronly6detail27GenericPackedTensorAccessorINS4_14TensorAccessorIN3c108ArrayRefIlEEKT_Lm3ENS3_16DefaultPtrTraitsElEENS_6detail16IndexBoundsCheckILm4ElEESB_Lm4ESC_lEENS5_INS6_IS9_KlLm3ESC_lEESG_SI_Lm4ESC_lEEPSA_llll.num_agpr, 0
	.set _ZN2at6native30max_unpooling3d_forward_kernelIsEEvN5torch10headeronly6detail27GenericPackedTensorAccessorINS4_14TensorAccessorIN3c108ArrayRefIlEEKT_Lm3ENS3_16DefaultPtrTraitsElEENS_6detail16IndexBoundsCheckILm4ElEESB_Lm4ESC_lEENS5_INS6_IS9_KlLm3ESC_lEESG_SI_Lm4ESC_lEEPSA_llll.numbered_sgpr, 28
	.set _ZN2at6native30max_unpooling3d_forward_kernelIsEEvN5torch10headeronly6detail27GenericPackedTensorAccessorINS4_14TensorAccessorIN3c108ArrayRefIlEEKT_Lm3ENS3_16DefaultPtrTraitsElEENS_6detail16IndexBoundsCheckILm4ElEESB_Lm4ESC_lEENS5_INS6_IS9_KlLm3ESC_lEESG_SI_Lm4ESC_lEEPSA_llll.num_named_barrier, 0
	.set _ZN2at6native30max_unpooling3d_forward_kernelIsEEvN5torch10headeronly6detail27GenericPackedTensorAccessorINS4_14TensorAccessorIN3c108ArrayRefIlEEKT_Lm3ENS3_16DefaultPtrTraitsElEENS_6detail16IndexBoundsCheckILm4ElEESB_Lm4ESC_lEENS5_INS6_IS9_KlLm3ESC_lEESG_SI_Lm4ESC_lEEPSA_llll.private_seg_size, 0
	.set _ZN2at6native30max_unpooling3d_forward_kernelIsEEvN5torch10headeronly6detail27GenericPackedTensorAccessorINS4_14TensorAccessorIN3c108ArrayRefIlEEKT_Lm3ENS3_16DefaultPtrTraitsElEENS_6detail16IndexBoundsCheckILm4ElEESB_Lm4ESC_lEENS5_INS6_IS9_KlLm3ESC_lEESG_SI_Lm4ESC_lEEPSA_llll.uses_vcc, 1
	.set _ZN2at6native30max_unpooling3d_forward_kernelIsEEvN5torch10headeronly6detail27GenericPackedTensorAccessorINS4_14TensorAccessorIN3c108ArrayRefIlEEKT_Lm3ENS3_16DefaultPtrTraitsElEENS_6detail16IndexBoundsCheckILm4ElEESB_Lm4ESC_lEENS5_INS6_IS9_KlLm3ESC_lEESG_SI_Lm4ESC_lEEPSA_llll.uses_flat_scratch, 0
	.set _ZN2at6native30max_unpooling3d_forward_kernelIsEEvN5torch10headeronly6detail27GenericPackedTensorAccessorINS4_14TensorAccessorIN3c108ArrayRefIlEEKT_Lm3ENS3_16DefaultPtrTraitsElEENS_6detail16IndexBoundsCheckILm4ElEESB_Lm4ESC_lEENS5_INS6_IS9_KlLm3ESC_lEESG_SI_Lm4ESC_lEEPSA_llll.has_dyn_sized_stack, 0
	.set _ZN2at6native30max_unpooling3d_forward_kernelIsEEvN5torch10headeronly6detail27GenericPackedTensorAccessorINS4_14TensorAccessorIN3c108ArrayRefIlEEKT_Lm3ENS3_16DefaultPtrTraitsElEENS_6detail16IndexBoundsCheckILm4ElEESB_Lm4ESC_lEENS5_INS6_IS9_KlLm3ESC_lEESG_SI_Lm4ESC_lEEPSA_llll.has_recursion, 0
	.set _ZN2at6native30max_unpooling3d_forward_kernelIsEEvN5torch10headeronly6detail27GenericPackedTensorAccessorINS4_14TensorAccessorIN3c108ArrayRefIlEEKT_Lm3ENS3_16DefaultPtrTraitsElEENS_6detail16IndexBoundsCheckILm4ElEESB_Lm4ESC_lEENS5_INS6_IS9_KlLm3ESC_lEESG_SI_Lm4ESC_lEEPSA_llll.has_indirect_call, 0
	.section	.AMDGPU.csdata,"",@progbits
; Kernel info:
; codeLenInByte = 1364
; TotalNumSgprs: 32
; NumVgprs: 11
; ScratchSize: 0
; MemoryBound: 0
; FloatMode: 240
; IeeeMode: 1
; LDSByteSize: 0 bytes/workgroup (compile time only)
; SGPRBlocks: 3
; VGPRBlocks: 2
; NumSGPRsForWavesPerEU: 32
; NumVGPRsForWavesPerEU: 11
; Occupancy: 10
; WaveLimiterHint : 1
; COMPUTE_PGM_RSRC2:SCRATCH_EN: 0
; COMPUTE_PGM_RSRC2:USER_SGPR: 6
; COMPUTE_PGM_RSRC2:TRAP_HANDLER: 0
; COMPUTE_PGM_RSRC2:TGID_X_EN: 1
; COMPUTE_PGM_RSRC2:TGID_Y_EN: 1
; COMPUTE_PGM_RSRC2:TGID_Z_EN: 1
; COMPUTE_PGM_RSRC2:TIDIG_COMP_CNT: 1
	.section	.text._ZN2at6native30max_unpooling3d_forward_kernelIdEEvN5torch10headeronly6detail27GenericPackedTensorAccessorINS4_14TensorAccessorIN3c108ArrayRefIlEEKT_Lm3ENS3_16DefaultPtrTraitsElEENS_6detail16IndexBoundsCheckILm4ElEESB_Lm4ESC_lEENS5_INS6_IS9_KlLm3ESC_lEESG_SI_Lm4ESC_lEEPSA_llll,"axG",@progbits,_ZN2at6native30max_unpooling3d_forward_kernelIdEEvN5torch10headeronly6detail27GenericPackedTensorAccessorINS4_14TensorAccessorIN3c108ArrayRefIlEEKT_Lm3ENS3_16DefaultPtrTraitsElEENS_6detail16IndexBoundsCheckILm4ElEESB_Lm4ESC_lEENS5_INS6_IS9_KlLm3ESC_lEESG_SI_Lm4ESC_lEEPSA_llll,comdat
	.protected	_ZN2at6native30max_unpooling3d_forward_kernelIdEEvN5torch10headeronly6detail27GenericPackedTensorAccessorINS4_14TensorAccessorIN3c108ArrayRefIlEEKT_Lm3ENS3_16DefaultPtrTraitsElEENS_6detail16IndexBoundsCheckILm4ElEESB_Lm4ESC_lEENS5_INS6_IS9_KlLm3ESC_lEESG_SI_Lm4ESC_lEEPSA_llll ; -- Begin function _ZN2at6native30max_unpooling3d_forward_kernelIdEEvN5torch10headeronly6detail27GenericPackedTensorAccessorINS4_14TensorAccessorIN3c108ArrayRefIlEEKT_Lm3ENS3_16DefaultPtrTraitsElEENS_6detail16IndexBoundsCheckILm4ElEESB_Lm4ESC_lEENS5_INS6_IS9_KlLm3ESC_lEESG_SI_Lm4ESC_lEEPSA_llll
	.globl	_ZN2at6native30max_unpooling3d_forward_kernelIdEEvN5torch10headeronly6detail27GenericPackedTensorAccessorINS4_14TensorAccessorIN3c108ArrayRefIlEEKT_Lm3ENS3_16DefaultPtrTraitsElEENS_6detail16IndexBoundsCheckILm4ElEESB_Lm4ESC_lEENS5_INS6_IS9_KlLm3ESC_lEESG_SI_Lm4ESC_lEEPSA_llll
	.p2align	8
	.type	_ZN2at6native30max_unpooling3d_forward_kernelIdEEvN5torch10headeronly6detail27GenericPackedTensorAccessorINS4_14TensorAccessorIN3c108ArrayRefIlEEKT_Lm3ENS3_16DefaultPtrTraitsElEENS_6detail16IndexBoundsCheckILm4ElEESB_Lm4ESC_lEENS5_INS6_IS9_KlLm3ESC_lEESG_SI_Lm4ESC_lEEPSA_llll,@function
_ZN2at6native30max_unpooling3d_forward_kernelIdEEvN5torch10headeronly6detail27GenericPackedTensorAccessorINS4_14TensorAccessorIN3c108ArrayRefIlEEKT_Lm3ENS3_16DefaultPtrTraitsElEENS_6detail16IndexBoundsCheckILm4ElEESB_Lm4ESC_lEENS5_INS6_IS9_KlLm3ESC_lEESG_SI_Lm4ESC_lEEPSA_llll: ; @_ZN2at6native30max_unpooling3d_forward_kernelIdEEvN5torch10headeronly6detail27GenericPackedTensorAccessorINS4_14TensorAccessorIN3c108ArrayRefIlEEKT_Lm3ENS3_16DefaultPtrTraitsElEENS_6detail16IndexBoundsCheckILm4ElEESB_Lm4ESC_lEENS5_INS6_IS9_KlLm3ESC_lEESG_SI_Lm4ESC_lEEPSA_llll
; %bb.0:
	s_load_dwordx2 s[0:1], s[4:5], 0xb0
	s_load_dwordx2 s[24:25], s[4:5], 0x10
	s_mov_b32 s10, 0
	v_mov_b32_e32 v2, v1
	s_waitcnt lgkmcnt(0)
	s_add_u32 s2, s0, s8
	s_addc_u32 s3, s1, 0
	s_or_b64 s[0:1], s[2:3], s[24:25]
	s_mov_b32 s11, s1
	s_cmp_lg_u64 s[10:11], 0
	s_cbranch_scc0 .LBB14_8
; %bb.1:
	s_ashr_i32 s8, s25, 31
	s_add_u32 s0, s24, s8
	s_mov_b32 s9, s8
	s_addc_u32 s1, s25, s8
	s_xor_b64 s[10:11], s[0:1], s[8:9]
	v_cvt_f32_u32_e32 v1, s10
	v_cvt_f32_u32_e32 v3, s11
	s_sub_u32 s14, 0, s10
	s_subb_u32 s15, 0, s11
	v_madmk_f32 v1, v3, 0x4f800000, v1
	v_rcp_f32_e32 v1, v1
	v_mul_f32_e32 v1, 0x5f7ffffc, v1
	v_mul_f32_e32 v3, 0x2f800000, v1
	v_trunc_f32_e32 v3, v3
	v_madmk_f32 v1, v3, 0xcf800000, v1
	v_cvt_u32_f32_e32 v3, v3
	v_cvt_u32_f32_e32 v1, v1
	v_readfirstlane_b32 s16, v3
	v_readfirstlane_b32 s12, v1
	s_mul_i32 s13, s14, s16
	s_mul_hi_u32 s18, s14, s12
	s_mul_i32 s17, s15, s12
	s_add_i32 s13, s18, s13
	s_add_i32 s13, s13, s17
	s_mul_i32 s19, s14, s12
	s_mul_i32 s18, s12, s13
	s_mul_hi_u32 s20, s12, s19
	s_mul_hi_u32 s17, s12, s13
	s_add_u32 s18, s20, s18
	s_addc_u32 s17, 0, s17
	s_mul_hi_u32 s21, s16, s19
	s_mul_i32 s19, s16, s19
	s_add_u32 s18, s18, s19
	s_mul_hi_u32 s20, s16, s13
	s_addc_u32 s17, s17, s21
	s_addc_u32 s18, s20, 0
	s_mul_i32 s13, s16, s13
	s_add_u32 s13, s17, s13
	s_addc_u32 s17, 0, s18
	s_add_u32 s18, s12, s13
	s_cselect_b64 s[12:13], -1, 0
	s_cmp_lg_u64 s[12:13], 0
	s_addc_u32 s16, s16, s17
	s_mul_i32 s12, s14, s16
	s_mul_hi_u32 s13, s14, s18
	s_add_i32 s12, s13, s12
	s_mul_i32 s15, s15, s18
	s_add_i32 s12, s12, s15
	s_mul_i32 s14, s14, s18
	s_mul_hi_u32 s15, s16, s14
	s_mul_i32 s17, s16, s14
	s_mul_i32 s20, s18, s12
	s_mul_hi_u32 s14, s18, s14
	s_mul_hi_u32 s19, s18, s12
	s_add_u32 s14, s14, s20
	s_addc_u32 s19, 0, s19
	s_add_u32 s14, s14, s17
	s_mul_hi_u32 s13, s16, s12
	s_addc_u32 s14, s19, s15
	s_addc_u32 s13, s13, 0
	s_mul_i32 s12, s16, s12
	s_add_u32 s12, s14, s12
	s_addc_u32 s14, 0, s13
	s_add_u32 s17, s18, s12
	s_cselect_b64 s[12:13], -1, 0
	s_cmp_lg_u64 s[12:13], 0
	s_addc_u32 s16, s16, s14
	s_ashr_i32 s12, s3, 31
	s_add_u32 s14, s2, s12
	s_mov_b32 s13, s12
	s_addc_u32 s15, s3, s12
	s_xor_b64 s[14:15], s[14:15], s[12:13]
	s_mul_i32 s19, s14, s16
	s_mul_hi_u32 s20, s14, s17
	s_mul_hi_u32 s18, s14, s16
	s_add_u32 s19, s20, s19
	s_addc_u32 s18, 0, s18
	s_mul_hi_u32 s21, s15, s17
	s_mul_i32 s17, s15, s17
	s_add_u32 s17, s19, s17
	s_mul_hi_u32 s20, s15, s16
	s_addc_u32 s17, s18, s21
	s_addc_u32 s18, s20, 0
	s_mul_i32 s16, s15, s16
	s_add_u32 s20, s17, s16
	s_addc_u32 s21, 0, s18
	s_mul_i32 s16, s10, s21
	s_mul_hi_u32 s17, s10, s20
	s_add_i32 s16, s17, s16
	s_mul_i32 s17, s11, s20
	s_add_i32 s22, s16, s17
	s_sub_i32 s18, s15, s22
	s_mul_i32 s16, s10, s20
	s_sub_u32 s14, s14, s16
	s_cselect_b64 s[16:17], -1, 0
	s_cmp_lg_u64 s[16:17], 0
	s_subb_u32 s23, s18, s11
	s_sub_u32 s26, s14, s10
	s_cselect_b64 s[18:19], -1, 0
	s_cmp_lg_u64 s[18:19], 0
	s_subb_u32 s18, s23, 0
	s_cmp_ge_u32 s18, s11
	s_cselect_b32 s19, -1, 0
	s_cmp_ge_u32 s26, s10
	s_cselect_b32 s23, -1, 0
	s_cmp_eq_u32 s18, s11
	s_cselect_b32 s18, s23, s19
	s_add_u32 s19, s20, 1
	s_addc_u32 s23, s21, 0
	s_add_u32 s26, s20, 2
	s_addc_u32 s27, s21, 0
	s_cmp_lg_u32 s18, 0
	s_cselect_b32 s18, s26, s19
	s_cselect_b32 s19, s27, s23
	s_cmp_lg_u64 s[16:17], 0
	s_subb_u32 s15, s15, s22
	s_cmp_ge_u32 s15, s11
	s_cselect_b32 s16, -1, 0
	s_cmp_ge_u32 s14, s10
	s_cselect_b32 s10, -1, 0
	s_cmp_eq_u32 s15, s11
	s_cselect_b32 s10, s10, s16
	s_cmp_lg_u32 s10, 0
	s_cselect_b32 s11, s19, s21
	s_cselect_b32 s10, s18, s20
	s_xor_b64 s[8:9], s[12:13], s[8:9]
	s_xor_b64 s[10:11], s[10:11], s[8:9]
	s_sub_u32 s26, s10, s8
	s_subb_u32 s27, s11, s9
	s_load_dword s8, s[4:5], 0xc4
	s_cbranch_execnz .LBB14_3
.LBB14_2:
	v_cvt_f32_u32_e32 v1, s24
	s_sub_i32 s0, 0, s24
	s_mov_b32 s27, 0
	v_rcp_iflag_f32_e32 v1, v1
	v_mul_f32_e32 v1, 0x4f7ffffe, v1
	v_cvt_u32_f32_e32 v1, v1
	v_readfirstlane_b32 s1, v1
	s_mul_i32 s0, s0, s1
	s_mul_hi_u32 s0, s1, s0
	s_add_i32 s1, s1, s0
	s_mul_hi_u32 s0, s2, s1
	s_mul_i32 s9, s0, s24
	s_sub_i32 s9, s2, s9
	s_add_i32 s1, s0, 1
	s_sub_i32 s10, s9, s24
	s_cmp_ge_u32 s9, s24
	s_cselect_b32 s0, s1, s0
	s_cselect_b32 s9, s10, s9
	s_add_i32 s1, s0, 1
	s_cmp_ge_u32 s9, s24
	s_cselect_b32 s26, s1, s0
.LBB14_3:
	s_waitcnt lgkmcnt(0)
	s_lshr_b32 s12, s8, 16
	v_mov_b32_e32 v1, 0
	s_and_b32 s0, s8, 0xffff
	v_mov_b32_e32 v3, s6
	s_load_dwordx4 s[8:11], s[4:5], 0x18
	v_mad_u64_u32 v[3:4], s[0:1], s0, v3, v[0:1]
	s_mul_i32 s7, s7, s12
	v_add_u32_e32 v0, s7, v2
	s_waitcnt lgkmcnt(0)
	v_cmp_gt_i64_e32 vcc, s[8:9], v[0:1]
	v_cmp_gt_i64_e64 s[0:1], s[10:11], v[3:4]
	s_and_b64 s[0:1], vcc, s[0:1]
	s_and_saveexec_b64 s[6:7], s[0:1]
	s_cbranch_execz .LBB14_7
; %bb.4:
	s_load_dwordx8 s[8:15], s[4:5], 0x90
	s_load_dwordx8 s[16:23], s[4:5], 0x70
	s_waitcnt lgkmcnt(0)
	s_mul_i32 s0, s12, s11
	s_mul_hi_u32 s1, s12, s10
	s_mul_i32 s6, s13, s10
	s_mul_i32 s12, s12, s10
	s_add_i32 s0, s1, s0
	s_mul_i32 s1, s12, s15
	s_add_i32 s0, s0, s6
	s_mul_hi_u32 s6, s12, s14
	s_add_i32 s1, s6, s1
	s_mul_i32 s0, s0, s14
	s_add_i32 s7, s1, s0
	s_mul_i32 s0, s26, s25
	s_mul_hi_u32 s1, s26, s24
	s_add_i32 s0, s1, s0
	s_mul_i32 s1, s27, s24
	s_add_i32 s0, s0, s1
	s_mul_i32 s1, s26, s24
	s_sub_u32 s2, s2, s1
	s_subb_u32 s3, s3, s0
	s_load_dwordx2 s[0:1], s[4:5], 0x48
	s_mul_i32 s6, s16, s27
	s_mul_hi_u32 s10, s16, s26
	s_add_i32 s6, s10, s6
	s_mul_i32 s10, s17, s26
	s_add_i32 s11, s6, s10
	s_mul_i32 s10, s16, s26
	s_lshl_b64 s[10:11], s[10:11], 3
	s_waitcnt lgkmcnt(0)
	s_add_u32 s6, s0, s10
	s_addc_u32 s13, s1, s11
	s_mul_i32 s0, s18, s3
	s_mul_hi_u32 s1, s18, s2
	s_add_i32 s10, s1, s0
	v_mad_u64_u32 v[1:2], s[0:1], s20, v0, 0
	s_mul_i32 s0, s19, s2
	s_add_i32 s1, s10, s0
	s_mul_i32 s0, s18, s2
	v_mad_u64_u32 v[5:6], s[10:11], s21, v0, v[2:3]
	s_lshl_b64 s[0:1], s[0:1], 3
	s_add_u32 s6, s6, s0
	s_addc_u32 s0, s13, s1
	v_mov_b32_e32 v2, v5
	v_mov_b32_e32 v7, s0
	v_mul_lo_u32 v8, s23, v3
	v_mul_lo_u32 v9, s22, v4
	v_mad_u64_u32 v[5:6], s[0:1], s22, v3, 0
	v_lshlrev_b64 v[1:2], 3, v[1:2]
	v_add_co_u32_e32 v10, vcc, s6, v1
	v_add3_u32 v6, v6, v9, v8
	v_addc_co_u32_e32 v7, vcc, v7, v2, vcc
	v_lshlrev_b64 v[1:2], 3, v[5:6]
	s_mul_i32 s6, s12, s14
	v_add_co_u32_e32 v1, vcc, v10, v1
	v_addc_co_u32_e32 v2, vcc, v7, v2, vcc
	global_load_dwordx2 v[1:2], v[1:2], off
	s_waitcnt vmcnt(0)
	v_cmp_lt_i64_e32 vcc, -1, v[1:2]
	v_cmp_gt_i64_e64 s[0:1], s[6:7], v[1:2]
	s_and_b64 s[0:1], vcc, s[0:1]
	s_and_saveexec_b64 s[10:11], s[0:1]
	s_xor_b64 s[0:1], exec, s[10:11]
	s_cbranch_execz .LBB14_6
; %bb.5:
	s_load_dwordx8 s[12:19], s[4:5], 0x28
	s_load_dwordx2 s[10:11], s[4:5], 0x0
	s_waitcnt lgkmcnt(0)
	s_mul_i32 s5, s12, s27
	s_mul_hi_u32 s20, s12, s26
	s_mul_i32 s13, s13, s26
	s_add_i32 s5, s20, s5
	s_mul_i32 s4, s12, s26
	s_add_i32 s5, s5, s13
	s_lshl_b64 s[4:5], s[4:5], 3
	s_add_u32 s10, s10, s4
	s_mul_i32 s3, s14, s3
	s_mul_hi_u32 s4, s14, s2
	s_addc_u32 s11, s11, s5
	s_add_i32 s3, s4, s3
	v_mad_u64_u32 v[5:6], s[4:5], s16, v0, 0
	s_mul_i32 s4, s15, s2
	s_add_i32 s3, s3, s4
	s_mul_i32 s2, s14, s2
	v_mad_u64_u32 v[6:7], s[4:5], s17, v0, v[6:7]
	s_lshl_b64 s[2:3], s[2:3], 3
	s_add_u32 s4, s10, s2
	s_addc_u32 s2, s11, s3
	v_mov_b32_e32 v0, s2
	v_mul_lo_u32 v7, s19, v3
	v_mul_lo_u32 v8, s18, v4
	v_mad_u64_u32 v[3:4], s[2:3], s18, v3, 0
	v_lshlrev_b64 v[5:6], 3, v[5:6]
	s_mul_i32 s2, s6, s27
	v_add3_u32 v4, v4, v8, v7
	v_add_co_u32_e32 v5, vcc, s4, v5
	v_lshlrev_b64 v[3:4], 3, v[3:4]
	v_addc_co_u32_e32 v0, vcc, v0, v6, vcc
	v_add_co_u32_e32 v3, vcc, v5, v3
	v_addc_co_u32_e32 v4, vcc, v0, v4, vcc
	global_load_dwordx2 v[3:4], v[3:4], off
	s_mul_hi_u32 s3, s6, s26
	s_add_i32 s2, s3, s2
	s_mul_i32 s3, s7, s26
	s_add_i32 s3, s2, s3
	s_mul_i32 s2, s6, s26
	s_lshl_b64 s[2:3], s[2:3], 3
	s_add_u32 s2, s8, s2
	v_lshlrev_b64 v[0:1], 3, v[1:2]
	s_addc_u32 s3, s9, s3
	v_mov_b32_e32 v2, s3
	v_add_co_u32_e32 v0, vcc, s2, v0
	v_addc_co_u32_e32 v1, vcc, v2, v1, vcc
	s_waitcnt vmcnt(0)
	global_store_dwordx2 v[0:1], v[3:4], off
.LBB14_6:
	s_andn2_saveexec_b64 s[0:1], s[0:1]
	s_cbranch_execnz .LBB14_9
.LBB14_7:
	s_endpgm
.LBB14_8:
                                        ; implicit-def: $sgpr26_sgpr27
	s_load_dword s8, s[4:5], 0xc4
	s_branch .LBB14_2
.LBB14_9:
	s_trap 2
	; divergent unreachable
	s_endpgm
	.section	.rodata,"a",@progbits
	.p2align	6, 0x0
	.amdhsa_kernel _ZN2at6native30max_unpooling3d_forward_kernelIdEEvN5torch10headeronly6detail27GenericPackedTensorAccessorINS4_14TensorAccessorIN3c108ArrayRefIlEEKT_Lm3ENS3_16DefaultPtrTraitsElEENS_6detail16IndexBoundsCheckILm4ElEESB_Lm4ESC_lEENS5_INS6_IS9_KlLm3ESC_lEESG_SI_Lm4ESC_lEEPSA_llll
		.amdhsa_group_segment_fixed_size 0
		.amdhsa_private_segment_fixed_size 0
		.amdhsa_kernarg_size 440
		.amdhsa_user_sgpr_count 6
		.amdhsa_user_sgpr_private_segment_buffer 1
		.amdhsa_user_sgpr_dispatch_ptr 0
		.amdhsa_user_sgpr_queue_ptr 0
		.amdhsa_user_sgpr_kernarg_segment_ptr 1
		.amdhsa_user_sgpr_dispatch_id 0
		.amdhsa_user_sgpr_flat_scratch_init 0
		.amdhsa_user_sgpr_private_segment_size 0
		.amdhsa_uses_dynamic_stack 0
		.amdhsa_system_sgpr_private_segment_wavefront_offset 0
		.amdhsa_system_sgpr_workgroup_id_x 1
		.amdhsa_system_sgpr_workgroup_id_y 1
		.amdhsa_system_sgpr_workgroup_id_z 1
		.amdhsa_system_sgpr_workgroup_info 0
		.amdhsa_system_vgpr_workitem_id 1
		.amdhsa_next_free_vgpr 11
		.amdhsa_next_free_sgpr 28
		.amdhsa_reserve_vcc 1
		.amdhsa_reserve_flat_scratch 0
		.amdhsa_float_round_mode_32 0
		.amdhsa_float_round_mode_16_64 0
		.amdhsa_float_denorm_mode_32 3
		.amdhsa_float_denorm_mode_16_64 3
		.amdhsa_dx10_clamp 1
		.amdhsa_ieee_mode 1
		.amdhsa_fp16_overflow 0
		.amdhsa_exception_fp_ieee_invalid_op 0
		.amdhsa_exception_fp_denorm_src 0
		.amdhsa_exception_fp_ieee_div_zero 0
		.amdhsa_exception_fp_ieee_overflow 0
		.amdhsa_exception_fp_ieee_underflow 0
		.amdhsa_exception_fp_ieee_inexact 0
		.amdhsa_exception_int_div_zero 0
	.end_amdhsa_kernel
	.section	.text._ZN2at6native30max_unpooling3d_forward_kernelIdEEvN5torch10headeronly6detail27GenericPackedTensorAccessorINS4_14TensorAccessorIN3c108ArrayRefIlEEKT_Lm3ENS3_16DefaultPtrTraitsElEENS_6detail16IndexBoundsCheckILm4ElEESB_Lm4ESC_lEENS5_INS6_IS9_KlLm3ESC_lEESG_SI_Lm4ESC_lEEPSA_llll,"axG",@progbits,_ZN2at6native30max_unpooling3d_forward_kernelIdEEvN5torch10headeronly6detail27GenericPackedTensorAccessorINS4_14TensorAccessorIN3c108ArrayRefIlEEKT_Lm3ENS3_16DefaultPtrTraitsElEENS_6detail16IndexBoundsCheckILm4ElEESB_Lm4ESC_lEENS5_INS6_IS9_KlLm3ESC_lEESG_SI_Lm4ESC_lEEPSA_llll,comdat
.Lfunc_end14:
	.size	_ZN2at6native30max_unpooling3d_forward_kernelIdEEvN5torch10headeronly6detail27GenericPackedTensorAccessorINS4_14TensorAccessorIN3c108ArrayRefIlEEKT_Lm3ENS3_16DefaultPtrTraitsElEENS_6detail16IndexBoundsCheckILm4ElEESB_Lm4ESC_lEENS5_INS6_IS9_KlLm3ESC_lEESG_SI_Lm4ESC_lEEPSA_llll, .Lfunc_end14-_ZN2at6native30max_unpooling3d_forward_kernelIdEEvN5torch10headeronly6detail27GenericPackedTensorAccessorINS4_14TensorAccessorIN3c108ArrayRefIlEEKT_Lm3ENS3_16DefaultPtrTraitsElEENS_6detail16IndexBoundsCheckILm4ElEESB_Lm4ESC_lEENS5_INS6_IS9_KlLm3ESC_lEESG_SI_Lm4ESC_lEEPSA_llll
                                        ; -- End function
	.set _ZN2at6native30max_unpooling3d_forward_kernelIdEEvN5torch10headeronly6detail27GenericPackedTensorAccessorINS4_14TensorAccessorIN3c108ArrayRefIlEEKT_Lm3ENS3_16DefaultPtrTraitsElEENS_6detail16IndexBoundsCheckILm4ElEESB_Lm4ESC_lEENS5_INS6_IS9_KlLm3ESC_lEESG_SI_Lm4ESC_lEEPSA_llll.num_vgpr, 11
	.set _ZN2at6native30max_unpooling3d_forward_kernelIdEEvN5torch10headeronly6detail27GenericPackedTensorAccessorINS4_14TensorAccessorIN3c108ArrayRefIlEEKT_Lm3ENS3_16DefaultPtrTraitsElEENS_6detail16IndexBoundsCheckILm4ElEESB_Lm4ESC_lEENS5_INS6_IS9_KlLm3ESC_lEESG_SI_Lm4ESC_lEEPSA_llll.num_agpr, 0
	.set _ZN2at6native30max_unpooling3d_forward_kernelIdEEvN5torch10headeronly6detail27GenericPackedTensorAccessorINS4_14TensorAccessorIN3c108ArrayRefIlEEKT_Lm3ENS3_16DefaultPtrTraitsElEENS_6detail16IndexBoundsCheckILm4ElEESB_Lm4ESC_lEENS5_INS6_IS9_KlLm3ESC_lEESG_SI_Lm4ESC_lEEPSA_llll.numbered_sgpr, 28
	.set _ZN2at6native30max_unpooling3d_forward_kernelIdEEvN5torch10headeronly6detail27GenericPackedTensorAccessorINS4_14TensorAccessorIN3c108ArrayRefIlEEKT_Lm3ENS3_16DefaultPtrTraitsElEENS_6detail16IndexBoundsCheckILm4ElEESB_Lm4ESC_lEENS5_INS6_IS9_KlLm3ESC_lEESG_SI_Lm4ESC_lEEPSA_llll.num_named_barrier, 0
	.set _ZN2at6native30max_unpooling3d_forward_kernelIdEEvN5torch10headeronly6detail27GenericPackedTensorAccessorINS4_14TensorAccessorIN3c108ArrayRefIlEEKT_Lm3ENS3_16DefaultPtrTraitsElEENS_6detail16IndexBoundsCheckILm4ElEESB_Lm4ESC_lEENS5_INS6_IS9_KlLm3ESC_lEESG_SI_Lm4ESC_lEEPSA_llll.private_seg_size, 0
	.set _ZN2at6native30max_unpooling3d_forward_kernelIdEEvN5torch10headeronly6detail27GenericPackedTensorAccessorINS4_14TensorAccessorIN3c108ArrayRefIlEEKT_Lm3ENS3_16DefaultPtrTraitsElEENS_6detail16IndexBoundsCheckILm4ElEESB_Lm4ESC_lEENS5_INS6_IS9_KlLm3ESC_lEESG_SI_Lm4ESC_lEEPSA_llll.uses_vcc, 1
	.set _ZN2at6native30max_unpooling3d_forward_kernelIdEEvN5torch10headeronly6detail27GenericPackedTensorAccessorINS4_14TensorAccessorIN3c108ArrayRefIlEEKT_Lm3ENS3_16DefaultPtrTraitsElEENS_6detail16IndexBoundsCheckILm4ElEESB_Lm4ESC_lEENS5_INS6_IS9_KlLm3ESC_lEESG_SI_Lm4ESC_lEEPSA_llll.uses_flat_scratch, 0
	.set _ZN2at6native30max_unpooling3d_forward_kernelIdEEvN5torch10headeronly6detail27GenericPackedTensorAccessorINS4_14TensorAccessorIN3c108ArrayRefIlEEKT_Lm3ENS3_16DefaultPtrTraitsElEENS_6detail16IndexBoundsCheckILm4ElEESB_Lm4ESC_lEENS5_INS6_IS9_KlLm3ESC_lEESG_SI_Lm4ESC_lEEPSA_llll.has_dyn_sized_stack, 0
	.set _ZN2at6native30max_unpooling3d_forward_kernelIdEEvN5torch10headeronly6detail27GenericPackedTensorAccessorINS4_14TensorAccessorIN3c108ArrayRefIlEEKT_Lm3ENS3_16DefaultPtrTraitsElEENS_6detail16IndexBoundsCheckILm4ElEESB_Lm4ESC_lEENS5_INS6_IS9_KlLm3ESC_lEESG_SI_Lm4ESC_lEEPSA_llll.has_recursion, 0
	.set _ZN2at6native30max_unpooling3d_forward_kernelIdEEvN5torch10headeronly6detail27GenericPackedTensorAccessorINS4_14TensorAccessorIN3c108ArrayRefIlEEKT_Lm3ENS3_16DefaultPtrTraitsElEENS_6detail16IndexBoundsCheckILm4ElEESB_Lm4ESC_lEENS5_INS6_IS9_KlLm3ESC_lEESG_SI_Lm4ESC_lEEPSA_llll.has_indirect_call, 0
	.section	.AMDGPU.csdata,"",@progbits
; Kernel info:
; codeLenInByte = 1364
; TotalNumSgprs: 32
; NumVgprs: 11
; ScratchSize: 0
; MemoryBound: 0
; FloatMode: 240
; IeeeMode: 1
; LDSByteSize: 0 bytes/workgroup (compile time only)
; SGPRBlocks: 3
; VGPRBlocks: 2
; NumSGPRsForWavesPerEU: 32
; NumVGPRsForWavesPerEU: 11
; Occupancy: 10
; WaveLimiterHint : 1
; COMPUTE_PGM_RSRC2:SCRATCH_EN: 0
; COMPUTE_PGM_RSRC2:USER_SGPR: 6
; COMPUTE_PGM_RSRC2:TRAP_HANDLER: 0
; COMPUTE_PGM_RSRC2:TGID_X_EN: 1
; COMPUTE_PGM_RSRC2:TGID_Y_EN: 1
; COMPUTE_PGM_RSRC2:TGID_Z_EN: 1
; COMPUTE_PGM_RSRC2:TIDIG_COMP_CNT: 1
	.section	.text._ZN2at6native30max_unpooling3d_forward_kernelIfEEvN5torch10headeronly6detail27GenericPackedTensorAccessorINS4_14TensorAccessorIN3c108ArrayRefIlEEKT_Lm3ENS3_16DefaultPtrTraitsElEENS_6detail16IndexBoundsCheckILm4ElEESB_Lm4ESC_lEENS5_INS6_IS9_KlLm3ESC_lEESG_SI_Lm4ESC_lEEPSA_llll,"axG",@progbits,_ZN2at6native30max_unpooling3d_forward_kernelIfEEvN5torch10headeronly6detail27GenericPackedTensorAccessorINS4_14TensorAccessorIN3c108ArrayRefIlEEKT_Lm3ENS3_16DefaultPtrTraitsElEENS_6detail16IndexBoundsCheckILm4ElEESB_Lm4ESC_lEENS5_INS6_IS9_KlLm3ESC_lEESG_SI_Lm4ESC_lEEPSA_llll,comdat
	.protected	_ZN2at6native30max_unpooling3d_forward_kernelIfEEvN5torch10headeronly6detail27GenericPackedTensorAccessorINS4_14TensorAccessorIN3c108ArrayRefIlEEKT_Lm3ENS3_16DefaultPtrTraitsElEENS_6detail16IndexBoundsCheckILm4ElEESB_Lm4ESC_lEENS5_INS6_IS9_KlLm3ESC_lEESG_SI_Lm4ESC_lEEPSA_llll ; -- Begin function _ZN2at6native30max_unpooling3d_forward_kernelIfEEvN5torch10headeronly6detail27GenericPackedTensorAccessorINS4_14TensorAccessorIN3c108ArrayRefIlEEKT_Lm3ENS3_16DefaultPtrTraitsElEENS_6detail16IndexBoundsCheckILm4ElEESB_Lm4ESC_lEENS5_INS6_IS9_KlLm3ESC_lEESG_SI_Lm4ESC_lEEPSA_llll
	.globl	_ZN2at6native30max_unpooling3d_forward_kernelIfEEvN5torch10headeronly6detail27GenericPackedTensorAccessorINS4_14TensorAccessorIN3c108ArrayRefIlEEKT_Lm3ENS3_16DefaultPtrTraitsElEENS_6detail16IndexBoundsCheckILm4ElEESB_Lm4ESC_lEENS5_INS6_IS9_KlLm3ESC_lEESG_SI_Lm4ESC_lEEPSA_llll
	.p2align	8
	.type	_ZN2at6native30max_unpooling3d_forward_kernelIfEEvN5torch10headeronly6detail27GenericPackedTensorAccessorINS4_14TensorAccessorIN3c108ArrayRefIlEEKT_Lm3ENS3_16DefaultPtrTraitsElEENS_6detail16IndexBoundsCheckILm4ElEESB_Lm4ESC_lEENS5_INS6_IS9_KlLm3ESC_lEESG_SI_Lm4ESC_lEEPSA_llll,@function
_ZN2at6native30max_unpooling3d_forward_kernelIfEEvN5torch10headeronly6detail27GenericPackedTensorAccessorINS4_14TensorAccessorIN3c108ArrayRefIlEEKT_Lm3ENS3_16DefaultPtrTraitsElEENS_6detail16IndexBoundsCheckILm4ElEESB_Lm4ESC_lEENS5_INS6_IS9_KlLm3ESC_lEESG_SI_Lm4ESC_lEEPSA_llll: ; @_ZN2at6native30max_unpooling3d_forward_kernelIfEEvN5torch10headeronly6detail27GenericPackedTensorAccessorINS4_14TensorAccessorIN3c108ArrayRefIlEEKT_Lm3ENS3_16DefaultPtrTraitsElEENS_6detail16IndexBoundsCheckILm4ElEESB_Lm4ESC_lEENS5_INS6_IS9_KlLm3ESC_lEESG_SI_Lm4ESC_lEEPSA_llll
; %bb.0:
	s_load_dwordx2 s[0:1], s[4:5], 0xb0
	s_load_dwordx2 s[24:25], s[4:5], 0x10
	s_mov_b32 s10, 0
	v_mov_b32_e32 v2, v1
	s_waitcnt lgkmcnt(0)
	s_add_u32 s2, s0, s8
	s_addc_u32 s3, s1, 0
	s_or_b64 s[0:1], s[2:3], s[24:25]
	s_mov_b32 s11, s1
	s_cmp_lg_u64 s[10:11], 0
	s_cbranch_scc0 .LBB15_8
; %bb.1:
	s_ashr_i32 s8, s25, 31
	s_add_u32 s0, s24, s8
	s_mov_b32 s9, s8
	s_addc_u32 s1, s25, s8
	s_xor_b64 s[10:11], s[0:1], s[8:9]
	v_cvt_f32_u32_e32 v1, s10
	v_cvt_f32_u32_e32 v3, s11
	s_sub_u32 s14, 0, s10
	s_subb_u32 s15, 0, s11
	v_madmk_f32 v1, v3, 0x4f800000, v1
	v_rcp_f32_e32 v1, v1
	v_mul_f32_e32 v1, 0x5f7ffffc, v1
	v_mul_f32_e32 v3, 0x2f800000, v1
	v_trunc_f32_e32 v3, v3
	v_madmk_f32 v1, v3, 0xcf800000, v1
	v_cvt_u32_f32_e32 v3, v3
	v_cvt_u32_f32_e32 v1, v1
	v_readfirstlane_b32 s16, v3
	v_readfirstlane_b32 s12, v1
	s_mul_i32 s13, s14, s16
	s_mul_hi_u32 s18, s14, s12
	s_mul_i32 s17, s15, s12
	s_add_i32 s13, s18, s13
	s_add_i32 s13, s13, s17
	s_mul_i32 s19, s14, s12
	s_mul_i32 s18, s12, s13
	s_mul_hi_u32 s20, s12, s19
	s_mul_hi_u32 s17, s12, s13
	s_add_u32 s18, s20, s18
	s_addc_u32 s17, 0, s17
	s_mul_hi_u32 s21, s16, s19
	s_mul_i32 s19, s16, s19
	s_add_u32 s18, s18, s19
	s_mul_hi_u32 s20, s16, s13
	s_addc_u32 s17, s17, s21
	s_addc_u32 s18, s20, 0
	s_mul_i32 s13, s16, s13
	s_add_u32 s13, s17, s13
	s_addc_u32 s17, 0, s18
	s_add_u32 s18, s12, s13
	s_cselect_b64 s[12:13], -1, 0
	s_cmp_lg_u64 s[12:13], 0
	s_addc_u32 s16, s16, s17
	s_mul_i32 s12, s14, s16
	s_mul_hi_u32 s13, s14, s18
	s_add_i32 s12, s13, s12
	s_mul_i32 s15, s15, s18
	s_add_i32 s12, s12, s15
	s_mul_i32 s14, s14, s18
	s_mul_hi_u32 s15, s16, s14
	s_mul_i32 s17, s16, s14
	s_mul_i32 s20, s18, s12
	s_mul_hi_u32 s14, s18, s14
	s_mul_hi_u32 s19, s18, s12
	s_add_u32 s14, s14, s20
	s_addc_u32 s19, 0, s19
	s_add_u32 s14, s14, s17
	s_mul_hi_u32 s13, s16, s12
	s_addc_u32 s14, s19, s15
	s_addc_u32 s13, s13, 0
	s_mul_i32 s12, s16, s12
	s_add_u32 s12, s14, s12
	s_addc_u32 s14, 0, s13
	s_add_u32 s17, s18, s12
	s_cselect_b64 s[12:13], -1, 0
	s_cmp_lg_u64 s[12:13], 0
	s_addc_u32 s16, s16, s14
	s_ashr_i32 s12, s3, 31
	s_add_u32 s14, s2, s12
	s_mov_b32 s13, s12
	s_addc_u32 s15, s3, s12
	s_xor_b64 s[14:15], s[14:15], s[12:13]
	s_mul_i32 s19, s14, s16
	s_mul_hi_u32 s20, s14, s17
	s_mul_hi_u32 s18, s14, s16
	s_add_u32 s19, s20, s19
	s_addc_u32 s18, 0, s18
	s_mul_hi_u32 s21, s15, s17
	s_mul_i32 s17, s15, s17
	s_add_u32 s17, s19, s17
	s_mul_hi_u32 s20, s15, s16
	s_addc_u32 s17, s18, s21
	s_addc_u32 s18, s20, 0
	s_mul_i32 s16, s15, s16
	s_add_u32 s20, s17, s16
	s_addc_u32 s21, 0, s18
	s_mul_i32 s16, s10, s21
	s_mul_hi_u32 s17, s10, s20
	s_add_i32 s16, s17, s16
	s_mul_i32 s17, s11, s20
	s_add_i32 s22, s16, s17
	s_sub_i32 s18, s15, s22
	s_mul_i32 s16, s10, s20
	s_sub_u32 s14, s14, s16
	s_cselect_b64 s[16:17], -1, 0
	s_cmp_lg_u64 s[16:17], 0
	s_subb_u32 s23, s18, s11
	s_sub_u32 s26, s14, s10
	s_cselect_b64 s[18:19], -1, 0
	s_cmp_lg_u64 s[18:19], 0
	s_subb_u32 s18, s23, 0
	s_cmp_ge_u32 s18, s11
	s_cselect_b32 s19, -1, 0
	s_cmp_ge_u32 s26, s10
	s_cselect_b32 s23, -1, 0
	s_cmp_eq_u32 s18, s11
	s_cselect_b32 s18, s23, s19
	s_add_u32 s19, s20, 1
	s_addc_u32 s23, s21, 0
	s_add_u32 s26, s20, 2
	s_addc_u32 s27, s21, 0
	s_cmp_lg_u32 s18, 0
	s_cselect_b32 s18, s26, s19
	s_cselect_b32 s19, s27, s23
	s_cmp_lg_u64 s[16:17], 0
	s_subb_u32 s15, s15, s22
	s_cmp_ge_u32 s15, s11
	s_cselect_b32 s16, -1, 0
	s_cmp_ge_u32 s14, s10
	s_cselect_b32 s10, -1, 0
	s_cmp_eq_u32 s15, s11
	s_cselect_b32 s10, s10, s16
	s_cmp_lg_u32 s10, 0
	s_cselect_b32 s11, s19, s21
	s_cselect_b32 s10, s18, s20
	s_xor_b64 s[8:9], s[12:13], s[8:9]
	s_xor_b64 s[10:11], s[10:11], s[8:9]
	s_sub_u32 s26, s10, s8
	s_subb_u32 s27, s11, s9
	s_load_dword s8, s[4:5], 0xc4
	s_cbranch_execnz .LBB15_3
.LBB15_2:
	v_cvt_f32_u32_e32 v1, s24
	s_sub_i32 s0, 0, s24
	s_mov_b32 s27, 0
	v_rcp_iflag_f32_e32 v1, v1
	v_mul_f32_e32 v1, 0x4f7ffffe, v1
	v_cvt_u32_f32_e32 v1, v1
	v_readfirstlane_b32 s1, v1
	s_mul_i32 s0, s0, s1
	s_mul_hi_u32 s0, s1, s0
	s_add_i32 s1, s1, s0
	s_mul_hi_u32 s0, s2, s1
	s_mul_i32 s9, s0, s24
	s_sub_i32 s9, s2, s9
	s_add_i32 s1, s0, 1
	s_sub_i32 s10, s9, s24
	s_cmp_ge_u32 s9, s24
	s_cselect_b32 s0, s1, s0
	s_cselect_b32 s9, s10, s9
	s_add_i32 s1, s0, 1
	s_cmp_ge_u32 s9, s24
	s_cselect_b32 s26, s1, s0
.LBB15_3:
	s_waitcnt lgkmcnt(0)
	s_lshr_b32 s12, s8, 16
	v_mov_b32_e32 v1, 0
	s_and_b32 s0, s8, 0xffff
	v_mov_b32_e32 v3, s6
	s_load_dwordx4 s[8:11], s[4:5], 0x18
	v_mad_u64_u32 v[3:4], s[0:1], s0, v3, v[0:1]
	s_mul_i32 s7, s7, s12
	v_add_u32_e32 v0, s7, v2
	s_waitcnt lgkmcnt(0)
	v_cmp_gt_i64_e32 vcc, s[8:9], v[0:1]
	v_cmp_gt_i64_e64 s[0:1], s[10:11], v[3:4]
	s_and_b64 s[0:1], vcc, s[0:1]
	s_and_saveexec_b64 s[6:7], s[0:1]
	s_cbranch_execz .LBB15_7
; %bb.4:
	s_load_dwordx8 s[8:15], s[4:5], 0x90
	s_load_dwordx8 s[16:23], s[4:5], 0x70
	s_waitcnt lgkmcnt(0)
	s_mul_i32 s0, s12, s11
	s_mul_hi_u32 s1, s12, s10
	s_mul_i32 s6, s13, s10
	s_mul_i32 s12, s12, s10
	s_add_i32 s0, s1, s0
	s_mul_i32 s1, s12, s15
	s_add_i32 s0, s0, s6
	s_mul_hi_u32 s6, s12, s14
	s_add_i32 s1, s6, s1
	s_mul_i32 s0, s0, s14
	s_add_i32 s7, s1, s0
	s_mul_i32 s0, s26, s25
	s_mul_hi_u32 s1, s26, s24
	s_add_i32 s0, s1, s0
	s_mul_i32 s1, s27, s24
	s_add_i32 s0, s0, s1
	s_mul_i32 s1, s26, s24
	s_sub_u32 s2, s2, s1
	s_subb_u32 s3, s3, s0
	s_load_dwordx2 s[0:1], s[4:5], 0x48
	s_mul_i32 s6, s16, s27
	s_mul_hi_u32 s10, s16, s26
	s_add_i32 s6, s10, s6
	s_mul_i32 s10, s17, s26
	s_add_i32 s11, s6, s10
	s_mul_i32 s10, s16, s26
	s_lshl_b64 s[10:11], s[10:11], 3
	s_waitcnt lgkmcnt(0)
	s_add_u32 s6, s0, s10
	s_addc_u32 s13, s1, s11
	s_mul_i32 s0, s18, s3
	s_mul_hi_u32 s1, s18, s2
	s_add_i32 s10, s1, s0
	v_mad_u64_u32 v[1:2], s[0:1], s20, v0, 0
	s_mul_i32 s0, s19, s2
	s_add_i32 s1, s10, s0
	s_mul_i32 s0, s18, s2
	v_mad_u64_u32 v[5:6], s[10:11], s21, v0, v[2:3]
	s_lshl_b64 s[0:1], s[0:1], 3
	s_add_u32 s6, s6, s0
	s_addc_u32 s0, s13, s1
	v_mov_b32_e32 v2, v5
	v_mov_b32_e32 v7, s0
	v_mul_lo_u32 v8, s23, v3
	v_mul_lo_u32 v9, s22, v4
	v_mad_u64_u32 v[5:6], s[0:1], s22, v3, 0
	v_lshlrev_b64 v[1:2], 3, v[1:2]
	v_add_co_u32_e32 v10, vcc, s6, v1
	v_add3_u32 v6, v6, v9, v8
	v_addc_co_u32_e32 v7, vcc, v7, v2, vcc
	v_lshlrev_b64 v[1:2], 3, v[5:6]
	s_mul_i32 s6, s12, s14
	v_add_co_u32_e32 v1, vcc, v10, v1
	v_addc_co_u32_e32 v2, vcc, v7, v2, vcc
	global_load_dwordx2 v[1:2], v[1:2], off
	s_waitcnt vmcnt(0)
	v_cmp_lt_i64_e32 vcc, -1, v[1:2]
	v_cmp_gt_i64_e64 s[0:1], s[6:7], v[1:2]
	s_and_b64 s[0:1], vcc, s[0:1]
	s_and_saveexec_b64 s[10:11], s[0:1]
	s_xor_b64 s[0:1], exec, s[10:11]
	s_cbranch_execz .LBB15_6
; %bb.5:
	s_load_dwordx8 s[12:19], s[4:5], 0x28
	s_load_dwordx2 s[10:11], s[4:5], 0x0
	s_waitcnt lgkmcnt(0)
	s_mul_i32 s5, s12, s27
	s_mul_hi_u32 s20, s12, s26
	s_mul_i32 s13, s13, s26
	s_add_i32 s5, s20, s5
	s_mul_i32 s4, s12, s26
	s_add_i32 s5, s5, s13
	s_lshl_b64 s[4:5], s[4:5], 2
	s_add_u32 s10, s10, s4
	s_mul_i32 s3, s14, s3
	s_mul_hi_u32 s4, s14, s2
	s_addc_u32 s11, s11, s5
	s_add_i32 s3, s4, s3
	v_mad_u64_u32 v[5:6], s[4:5], s16, v0, 0
	s_mul_i32 s4, s15, s2
	s_add_i32 s3, s3, s4
	s_mul_i32 s2, s14, s2
	v_mad_u64_u32 v[6:7], s[4:5], s17, v0, v[6:7]
	s_lshl_b64 s[2:3], s[2:3], 2
	s_add_u32 s4, s10, s2
	s_addc_u32 s2, s11, s3
	v_mov_b32_e32 v0, s2
	v_mul_lo_u32 v7, s19, v3
	v_mul_lo_u32 v8, s18, v4
	v_mad_u64_u32 v[3:4], s[2:3], s18, v3, 0
	v_lshlrev_b64 v[5:6], 2, v[5:6]
	s_mul_i32 s2, s6, s27
	v_add3_u32 v4, v4, v8, v7
	v_add_co_u32_e32 v5, vcc, s4, v5
	v_lshlrev_b64 v[3:4], 2, v[3:4]
	v_addc_co_u32_e32 v0, vcc, v0, v6, vcc
	v_add_co_u32_e32 v3, vcc, v5, v3
	v_addc_co_u32_e32 v4, vcc, v0, v4, vcc
	global_load_dword v3, v[3:4], off
	s_mul_hi_u32 s3, s6, s26
	s_add_i32 s2, s3, s2
	s_mul_i32 s3, s7, s26
	s_add_i32 s3, s2, s3
	s_mul_i32 s2, s6, s26
	s_lshl_b64 s[2:3], s[2:3], 2
	s_add_u32 s2, s8, s2
	v_lshlrev_b64 v[0:1], 2, v[1:2]
	s_addc_u32 s3, s9, s3
	v_mov_b32_e32 v2, s3
	v_add_co_u32_e32 v0, vcc, s2, v0
	v_addc_co_u32_e32 v1, vcc, v2, v1, vcc
	s_waitcnt vmcnt(0)
	global_store_dword v[0:1], v3, off
.LBB15_6:
	s_andn2_saveexec_b64 s[0:1], s[0:1]
	s_cbranch_execnz .LBB15_9
.LBB15_7:
	s_endpgm
.LBB15_8:
                                        ; implicit-def: $sgpr26_sgpr27
	s_load_dword s8, s[4:5], 0xc4
	s_branch .LBB15_2
.LBB15_9:
	s_trap 2
	; divergent unreachable
	s_endpgm
	.section	.rodata,"a",@progbits
	.p2align	6, 0x0
	.amdhsa_kernel _ZN2at6native30max_unpooling3d_forward_kernelIfEEvN5torch10headeronly6detail27GenericPackedTensorAccessorINS4_14TensorAccessorIN3c108ArrayRefIlEEKT_Lm3ENS3_16DefaultPtrTraitsElEENS_6detail16IndexBoundsCheckILm4ElEESB_Lm4ESC_lEENS5_INS6_IS9_KlLm3ESC_lEESG_SI_Lm4ESC_lEEPSA_llll
		.amdhsa_group_segment_fixed_size 0
		.amdhsa_private_segment_fixed_size 0
		.amdhsa_kernarg_size 440
		.amdhsa_user_sgpr_count 6
		.amdhsa_user_sgpr_private_segment_buffer 1
		.amdhsa_user_sgpr_dispatch_ptr 0
		.amdhsa_user_sgpr_queue_ptr 0
		.amdhsa_user_sgpr_kernarg_segment_ptr 1
		.amdhsa_user_sgpr_dispatch_id 0
		.amdhsa_user_sgpr_flat_scratch_init 0
		.amdhsa_user_sgpr_private_segment_size 0
		.amdhsa_uses_dynamic_stack 0
		.amdhsa_system_sgpr_private_segment_wavefront_offset 0
		.amdhsa_system_sgpr_workgroup_id_x 1
		.amdhsa_system_sgpr_workgroup_id_y 1
		.amdhsa_system_sgpr_workgroup_id_z 1
		.amdhsa_system_sgpr_workgroup_info 0
		.amdhsa_system_vgpr_workitem_id 1
		.amdhsa_next_free_vgpr 11
		.amdhsa_next_free_sgpr 28
		.amdhsa_reserve_vcc 1
		.amdhsa_reserve_flat_scratch 0
		.amdhsa_float_round_mode_32 0
		.amdhsa_float_round_mode_16_64 0
		.amdhsa_float_denorm_mode_32 3
		.amdhsa_float_denorm_mode_16_64 3
		.amdhsa_dx10_clamp 1
		.amdhsa_ieee_mode 1
		.amdhsa_fp16_overflow 0
		.amdhsa_exception_fp_ieee_invalid_op 0
		.amdhsa_exception_fp_denorm_src 0
		.amdhsa_exception_fp_ieee_div_zero 0
		.amdhsa_exception_fp_ieee_overflow 0
		.amdhsa_exception_fp_ieee_underflow 0
		.amdhsa_exception_fp_ieee_inexact 0
		.amdhsa_exception_int_div_zero 0
	.end_amdhsa_kernel
	.section	.text._ZN2at6native30max_unpooling3d_forward_kernelIfEEvN5torch10headeronly6detail27GenericPackedTensorAccessorINS4_14TensorAccessorIN3c108ArrayRefIlEEKT_Lm3ENS3_16DefaultPtrTraitsElEENS_6detail16IndexBoundsCheckILm4ElEESB_Lm4ESC_lEENS5_INS6_IS9_KlLm3ESC_lEESG_SI_Lm4ESC_lEEPSA_llll,"axG",@progbits,_ZN2at6native30max_unpooling3d_forward_kernelIfEEvN5torch10headeronly6detail27GenericPackedTensorAccessorINS4_14TensorAccessorIN3c108ArrayRefIlEEKT_Lm3ENS3_16DefaultPtrTraitsElEENS_6detail16IndexBoundsCheckILm4ElEESB_Lm4ESC_lEENS5_INS6_IS9_KlLm3ESC_lEESG_SI_Lm4ESC_lEEPSA_llll,comdat
.Lfunc_end15:
	.size	_ZN2at6native30max_unpooling3d_forward_kernelIfEEvN5torch10headeronly6detail27GenericPackedTensorAccessorINS4_14TensorAccessorIN3c108ArrayRefIlEEKT_Lm3ENS3_16DefaultPtrTraitsElEENS_6detail16IndexBoundsCheckILm4ElEESB_Lm4ESC_lEENS5_INS6_IS9_KlLm3ESC_lEESG_SI_Lm4ESC_lEEPSA_llll, .Lfunc_end15-_ZN2at6native30max_unpooling3d_forward_kernelIfEEvN5torch10headeronly6detail27GenericPackedTensorAccessorINS4_14TensorAccessorIN3c108ArrayRefIlEEKT_Lm3ENS3_16DefaultPtrTraitsElEENS_6detail16IndexBoundsCheckILm4ElEESB_Lm4ESC_lEENS5_INS6_IS9_KlLm3ESC_lEESG_SI_Lm4ESC_lEEPSA_llll
                                        ; -- End function
	.set _ZN2at6native30max_unpooling3d_forward_kernelIfEEvN5torch10headeronly6detail27GenericPackedTensorAccessorINS4_14TensorAccessorIN3c108ArrayRefIlEEKT_Lm3ENS3_16DefaultPtrTraitsElEENS_6detail16IndexBoundsCheckILm4ElEESB_Lm4ESC_lEENS5_INS6_IS9_KlLm3ESC_lEESG_SI_Lm4ESC_lEEPSA_llll.num_vgpr, 11
	.set _ZN2at6native30max_unpooling3d_forward_kernelIfEEvN5torch10headeronly6detail27GenericPackedTensorAccessorINS4_14TensorAccessorIN3c108ArrayRefIlEEKT_Lm3ENS3_16DefaultPtrTraitsElEENS_6detail16IndexBoundsCheckILm4ElEESB_Lm4ESC_lEENS5_INS6_IS9_KlLm3ESC_lEESG_SI_Lm4ESC_lEEPSA_llll.num_agpr, 0
	.set _ZN2at6native30max_unpooling3d_forward_kernelIfEEvN5torch10headeronly6detail27GenericPackedTensorAccessorINS4_14TensorAccessorIN3c108ArrayRefIlEEKT_Lm3ENS3_16DefaultPtrTraitsElEENS_6detail16IndexBoundsCheckILm4ElEESB_Lm4ESC_lEENS5_INS6_IS9_KlLm3ESC_lEESG_SI_Lm4ESC_lEEPSA_llll.numbered_sgpr, 28
	.set _ZN2at6native30max_unpooling3d_forward_kernelIfEEvN5torch10headeronly6detail27GenericPackedTensorAccessorINS4_14TensorAccessorIN3c108ArrayRefIlEEKT_Lm3ENS3_16DefaultPtrTraitsElEENS_6detail16IndexBoundsCheckILm4ElEESB_Lm4ESC_lEENS5_INS6_IS9_KlLm3ESC_lEESG_SI_Lm4ESC_lEEPSA_llll.num_named_barrier, 0
	.set _ZN2at6native30max_unpooling3d_forward_kernelIfEEvN5torch10headeronly6detail27GenericPackedTensorAccessorINS4_14TensorAccessorIN3c108ArrayRefIlEEKT_Lm3ENS3_16DefaultPtrTraitsElEENS_6detail16IndexBoundsCheckILm4ElEESB_Lm4ESC_lEENS5_INS6_IS9_KlLm3ESC_lEESG_SI_Lm4ESC_lEEPSA_llll.private_seg_size, 0
	.set _ZN2at6native30max_unpooling3d_forward_kernelIfEEvN5torch10headeronly6detail27GenericPackedTensorAccessorINS4_14TensorAccessorIN3c108ArrayRefIlEEKT_Lm3ENS3_16DefaultPtrTraitsElEENS_6detail16IndexBoundsCheckILm4ElEESB_Lm4ESC_lEENS5_INS6_IS9_KlLm3ESC_lEESG_SI_Lm4ESC_lEEPSA_llll.uses_vcc, 1
	.set _ZN2at6native30max_unpooling3d_forward_kernelIfEEvN5torch10headeronly6detail27GenericPackedTensorAccessorINS4_14TensorAccessorIN3c108ArrayRefIlEEKT_Lm3ENS3_16DefaultPtrTraitsElEENS_6detail16IndexBoundsCheckILm4ElEESB_Lm4ESC_lEENS5_INS6_IS9_KlLm3ESC_lEESG_SI_Lm4ESC_lEEPSA_llll.uses_flat_scratch, 0
	.set _ZN2at6native30max_unpooling3d_forward_kernelIfEEvN5torch10headeronly6detail27GenericPackedTensorAccessorINS4_14TensorAccessorIN3c108ArrayRefIlEEKT_Lm3ENS3_16DefaultPtrTraitsElEENS_6detail16IndexBoundsCheckILm4ElEESB_Lm4ESC_lEENS5_INS6_IS9_KlLm3ESC_lEESG_SI_Lm4ESC_lEEPSA_llll.has_dyn_sized_stack, 0
	.set _ZN2at6native30max_unpooling3d_forward_kernelIfEEvN5torch10headeronly6detail27GenericPackedTensorAccessorINS4_14TensorAccessorIN3c108ArrayRefIlEEKT_Lm3ENS3_16DefaultPtrTraitsElEENS_6detail16IndexBoundsCheckILm4ElEESB_Lm4ESC_lEENS5_INS6_IS9_KlLm3ESC_lEESG_SI_Lm4ESC_lEEPSA_llll.has_recursion, 0
	.set _ZN2at6native30max_unpooling3d_forward_kernelIfEEvN5torch10headeronly6detail27GenericPackedTensorAccessorINS4_14TensorAccessorIN3c108ArrayRefIlEEKT_Lm3ENS3_16DefaultPtrTraitsElEENS_6detail16IndexBoundsCheckILm4ElEESB_Lm4ESC_lEENS5_INS6_IS9_KlLm3ESC_lEESG_SI_Lm4ESC_lEEPSA_llll.has_indirect_call, 0
	.section	.AMDGPU.csdata,"",@progbits
; Kernel info:
; codeLenInByte = 1364
; TotalNumSgprs: 32
; NumVgprs: 11
; ScratchSize: 0
; MemoryBound: 0
; FloatMode: 240
; IeeeMode: 1
; LDSByteSize: 0 bytes/workgroup (compile time only)
; SGPRBlocks: 3
; VGPRBlocks: 2
; NumSGPRsForWavesPerEU: 32
; NumVGPRsForWavesPerEU: 11
; Occupancy: 10
; WaveLimiterHint : 1
; COMPUTE_PGM_RSRC2:SCRATCH_EN: 0
; COMPUTE_PGM_RSRC2:USER_SGPR: 6
; COMPUTE_PGM_RSRC2:TRAP_HANDLER: 0
; COMPUTE_PGM_RSRC2:TGID_X_EN: 1
; COMPUTE_PGM_RSRC2:TGID_Y_EN: 1
; COMPUTE_PGM_RSRC2:TGID_Z_EN: 1
; COMPUTE_PGM_RSRC2:TIDIG_COMP_CNT: 1
	.section	.text._ZN2at6native30max_unpooling3d_forward_kernelIN3c104HalfEEEvN5torch10headeronly6detail27GenericPackedTensorAccessorINS6_14TensorAccessorINS2_8ArrayRefIlEEKT_Lm3ENS5_16DefaultPtrTraitsElEENS_6detail16IndexBoundsCheckILm4ElEESC_Lm4ESD_lEENS7_INS8_ISA_KlLm3ESD_lEESH_SJ_Lm4ESD_lEEPSB_llll,"axG",@progbits,_ZN2at6native30max_unpooling3d_forward_kernelIN3c104HalfEEEvN5torch10headeronly6detail27GenericPackedTensorAccessorINS6_14TensorAccessorINS2_8ArrayRefIlEEKT_Lm3ENS5_16DefaultPtrTraitsElEENS_6detail16IndexBoundsCheckILm4ElEESC_Lm4ESD_lEENS7_INS8_ISA_KlLm3ESD_lEESH_SJ_Lm4ESD_lEEPSB_llll,comdat
	.protected	_ZN2at6native30max_unpooling3d_forward_kernelIN3c104HalfEEEvN5torch10headeronly6detail27GenericPackedTensorAccessorINS6_14TensorAccessorINS2_8ArrayRefIlEEKT_Lm3ENS5_16DefaultPtrTraitsElEENS_6detail16IndexBoundsCheckILm4ElEESC_Lm4ESD_lEENS7_INS8_ISA_KlLm3ESD_lEESH_SJ_Lm4ESD_lEEPSB_llll ; -- Begin function _ZN2at6native30max_unpooling3d_forward_kernelIN3c104HalfEEEvN5torch10headeronly6detail27GenericPackedTensorAccessorINS6_14TensorAccessorINS2_8ArrayRefIlEEKT_Lm3ENS5_16DefaultPtrTraitsElEENS_6detail16IndexBoundsCheckILm4ElEESC_Lm4ESD_lEENS7_INS8_ISA_KlLm3ESD_lEESH_SJ_Lm4ESD_lEEPSB_llll
	.globl	_ZN2at6native30max_unpooling3d_forward_kernelIN3c104HalfEEEvN5torch10headeronly6detail27GenericPackedTensorAccessorINS6_14TensorAccessorINS2_8ArrayRefIlEEKT_Lm3ENS5_16DefaultPtrTraitsElEENS_6detail16IndexBoundsCheckILm4ElEESC_Lm4ESD_lEENS7_INS8_ISA_KlLm3ESD_lEESH_SJ_Lm4ESD_lEEPSB_llll
	.p2align	8
	.type	_ZN2at6native30max_unpooling3d_forward_kernelIN3c104HalfEEEvN5torch10headeronly6detail27GenericPackedTensorAccessorINS6_14TensorAccessorINS2_8ArrayRefIlEEKT_Lm3ENS5_16DefaultPtrTraitsElEENS_6detail16IndexBoundsCheckILm4ElEESC_Lm4ESD_lEENS7_INS8_ISA_KlLm3ESD_lEESH_SJ_Lm4ESD_lEEPSB_llll,@function
_ZN2at6native30max_unpooling3d_forward_kernelIN3c104HalfEEEvN5torch10headeronly6detail27GenericPackedTensorAccessorINS6_14TensorAccessorINS2_8ArrayRefIlEEKT_Lm3ENS5_16DefaultPtrTraitsElEENS_6detail16IndexBoundsCheckILm4ElEESC_Lm4ESD_lEENS7_INS8_ISA_KlLm3ESD_lEESH_SJ_Lm4ESD_lEEPSB_llll: ; @_ZN2at6native30max_unpooling3d_forward_kernelIN3c104HalfEEEvN5torch10headeronly6detail27GenericPackedTensorAccessorINS6_14TensorAccessorINS2_8ArrayRefIlEEKT_Lm3ENS5_16DefaultPtrTraitsElEENS_6detail16IndexBoundsCheckILm4ElEESC_Lm4ESD_lEENS7_INS8_ISA_KlLm3ESD_lEESH_SJ_Lm4ESD_lEEPSB_llll
; %bb.0:
	s_load_dwordx2 s[0:1], s[4:5], 0xb0
	s_load_dwordx2 s[24:25], s[4:5], 0x10
	s_mov_b32 s10, 0
	v_mov_b32_e32 v2, v1
	s_waitcnt lgkmcnt(0)
	s_add_u32 s2, s0, s8
	s_addc_u32 s3, s1, 0
	s_or_b64 s[0:1], s[2:3], s[24:25]
	s_mov_b32 s11, s1
	s_cmp_lg_u64 s[10:11], 0
	s_cbranch_scc0 .LBB16_8
; %bb.1:
	s_ashr_i32 s8, s25, 31
	s_add_u32 s0, s24, s8
	s_mov_b32 s9, s8
	s_addc_u32 s1, s25, s8
	s_xor_b64 s[10:11], s[0:1], s[8:9]
	v_cvt_f32_u32_e32 v1, s10
	v_cvt_f32_u32_e32 v3, s11
	s_sub_u32 s14, 0, s10
	s_subb_u32 s15, 0, s11
	v_madmk_f32 v1, v3, 0x4f800000, v1
	v_rcp_f32_e32 v1, v1
	v_mul_f32_e32 v1, 0x5f7ffffc, v1
	v_mul_f32_e32 v3, 0x2f800000, v1
	v_trunc_f32_e32 v3, v3
	v_madmk_f32 v1, v3, 0xcf800000, v1
	v_cvt_u32_f32_e32 v3, v3
	v_cvt_u32_f32_e32 v1, v1
	v_readfirstlane_b32 s16, v3
	v_readfirstlane_b32 s12, v1
	s_mul_i32 s13, s14, s16
	s_mul_hi_u32 s18, s14, s12
	s_mul_i32 s17, s15, s12
	s_add_i32 s13, s18, s13
	s_add_i32 s13, s13, s17
	s_mul_i32 s19, s14, s12
	s_mul_i32 s18, s12, s13
	s_mul_hi_u32 s20, s12, s19
	s_mul_hi_u32 s17, s12, s13
	s_add_u32 s18, s20, s18
	s_addc_u32 s17, 0, s17
	s_mul_hi_u32 s21, s16, s19
	s_mul_i32 s19, s16, s19
	s_add_u32 s18, s18, s19
	s_mul_hi_u32 s20, s16, s13
	s_addc_u32 s17, s17, s21
	s_addc_u32 s18, s20, 0
	s_mul_i32 s13, s16, s13
	s_add_u32 s13, s17, s13
	s_addc_u32 s17, 0, s18
	s_add_u32 s18, s12, s13
	s_cselect_b64 s[12:13], -1, 0
	s_cmp_lg_u64 s[12:13], 0
	s_addc_u32 s16, s16, s17
	s_mul_i32 s12, s14, s16
	s_mul_hi_u32 s13, s14, s18
	s_add_i32 s12, s13, s12
	s_mul_i32 s15, s15, s18
	s_add_i32 s12, s12, s15
	s_mul_i32 s14, s14, s18
	s_mul_hi_u32 s15, s16, s14
	s_mul_i32 s17, s16, s14
	s_mul_i32 s20, s18, s12
	s_mul_hi_u32 s14, s18, s14
	s_mul_hi_u32 s19, s18, s12
	s_add_u32 s14, s14, s20
	s_addc_u32 s19, 0, s19
	s_add_u32 s14, s14, s17
	s_mul_hi_u32 s13, s16, s12
	s_addc_u32 s14, s19, s15
	s_addc_u32 s13, s13, 0
	s_mul_i32 s12, s16, s12
	s_add_u32 s12, s14, s12
	s_addc_u32 s14, 0, s13
	s_add_u32 s17, s18, s12
	s_cselect_b64 s[12:13], -1, 0
	s_cmp_lg_u64 s[12:13], 0
	s_addc_u32 s16, s16, s14
	s_ashr_i32 s12, s3, 31
	s_add_u32 s14, s2, s12
	s_mov_b32 s13, s12
	s_addc_u32 s15, s3, s12
	s_xor_b64 s[14:15], s[14:15], s[12:13]
	s_mul_i32 s19, s14, s16
	s_mul_hi_u32 s20, s14, s17
	s_mul_hi_u32 s18, s14, s16
	s_add_u32 s19, s20, s19
	s_addc_u32 s18, 0, s18
	s_mul_hi_u32 s21, s15, s17
	s_mul_i32 s17, s15, s17
	s_add_u32 s17, s19, s17
	s_mul_hi_u32 s20, s15, s16
	s_addc_u32 s17, s18, s21
	s_addc_u32 s18, s20, 0
	s_mul_i32 s16, s15, s16
	s_add_u32 s20, s17, s16
	s_addc_u32 s21, 0, s18
	s_mul_i32 s16, s10, s21
	s_mul_hi_u32 s17, s10, s20
	s_add_i32 s16, s17, s16
	s_mul_i32 s17, s11, s20
	s_add_i32 s22, s16, s17
	s_sub_i32 s18, s15, s22
	s_mul_i32 s16, s10, s20
	s_sub_u32 s14, s14, s16
	s_cselect_b64 s[16:17], -1, 0
	s_cmp_lg_u64 s[16:17], 0
	s_subb_u32 s23, s18, s11
	s_sub_u32 s26, s14, s10
	s_cselect_b64 s[18:19], -1, 0
	s_cmp_lg_u64 s[18:19], 0
	s_subb_u32 s18, s23, 0
	s_cmp_ge_u32 s18, s11
	s_cselect_b32 s19, -1, 0
	s_cmp_ge_u32 s26, s10
	s_cselect_b32 s23, -1, 0
	s_cmp_eq_u32 s18, s11
	s_cselect_b32 s18, s23, s19
	s_add_u32 s19, s20, 1
	s_addc_u32 s23, s21, 0
	s_add_u32 s26, s20, 2
	s_addc_u32 s27, s21, 0
	s_cmp_lg_u32 s18, 0
	s_cselect_b32 s18, s26, s19
	s_cselect_b32 s19, s27, s23
	s_cmp_lg_u64 s[16:17], 0
	s_subb_u32 s15, s15, s22
	s_cmp_ge_u32 s15, s11
	s_cselect_b32 s16, -1, 0
	s_cmp_ge_u32 s14, s10
	s_cselect_b32 s10, -1, 0
	s_cmp_eq_u32 s15, s11
	s_cselect_b32 s10, s10, s16
	s_cmp_lg_u32 s10, 0
	s_cselect_b32 s11, s19, s21
	s_cselect_b32 s10, s18, s20
	s_xor_b64 s[8:9], s[12:13], s[8:9]
	s_xor_b64 s[10:11], s[10:11], s[8:9]
	s_sub_u32 s26, s10, s8
	s_subb_u32 s27, s11, s9
	s_load_dword s8, s[4:5], 0xc4
	s_cbranch_execnz .LBB16_3
.LBB16_2:
	v_cvt_f32_u32_e32 v1, s24
	s_sub_i32 s0, 0, s24
	s_mov_b32 s27, 0
	v_rcp_iflag_f32_e32 v1, v1
	v_mul_f32_e32 v1, 0x4f7ffffe, v1
	v_cvt_u32_f32_e32 v1, v1
	v_readfirstlane_b32 s1, v1
	s_mul_i32 s0, s0, s1
	s_mul_hi_u32 s0, s1, s0
	s_add_i32 s1, s1, s0
	s_mul_hi_u32 s0, s2, s1
	s_mul_i32 s9, s0, s24
	s_sub_i32 s9, s2, s9
	s_add_i32 s1, s0, 1
	s_sub_i32 s10, s9, s24
	s_cmp_ge_u32 s9, s24
	s_cselect_b32 s0, s1, s0
	s_cselect_b32 s9, s10, s9
	s_add_i32 s1, s0, 1
	s_cmp_ge_u32 s9, s24
	s_cselect_b32 s26, s1, s0
.LBB16_3:
	s_waitcnt lgkmcnt(0)
	s_lshr_b32 s12, s8, 16
	v_mov_b32_e32 v1, 0
	s_and_b32 s0, s8, 0xffff
	v_mov_b32_e32 v3, s6
	s_load_dwordx4 s[8:11], s[4:5], 0x18
	v_mad_u64_u32 v[3:4], s[0:1], s0, v3, v[0:1]
	s_mul_i32 s7, s7, s12
	v_add_u32_e32 v0, s7, v2
	s_waitcnt lgkmcnt(0)
	v_cmp_gt_i64_e32 vcc, s[8:9], v[0:1]
	v_cmp_gt_i64_e64 s[0:1], s[10:11], v[3:4]
	s_and_b64 s[0:1], vcc, s[0:1]
	s_and_saveexec_b64 s[6:7], s[0:1]
	s_cbranch_execz .LBB16_7
; %bb.4:
	s_load_dwordx8 s[8:15], s[4:5], 0x90
	s_load_dwordx8 s[16:23], s[4:5], 0x70
	s_waitcnt lgkmcnt(0)
	s_mul_i32 s0, s12, s11
	s_mul_hi_u32 s1, s12, s10
	s_mul_i32 s6, s13, s10
	s_mul_i32 s12, s12, s10
	s_add_i32 s0, s1, s0
	s_mul_i32 s1, s12, s15
	s_add_i32 s0, s0, s6
	s_mul_hi_u32 s6, s12, s14
	s_add_i32 s1, s6, s1
	s_mul_i32 s0, s0, s14
	s_add_i32 s7, s1, s0
	s_mul_i32 s0, s26, s25
	s_mul_hi_u32 s1, s26, s24
	s_add_i32 s0, s1, s0
	s_mul_i32 s1, s27, s24
	s_add_i32 s0, s0, s1
	s_mul_i32 s1, s26, s24
	s_sub_u32 s2, s2, s1
	s_subb_u32 s3, s3, s0
	s_load_dwordx2 s[0:1], s[4:5], 0x48
	s_mul_i32 s6, s16, s27
	s_mul_hi_u32 s10, s16, s26
	s_add_i32 s6, s10, s6
	s_mul_i32 s10, s17, s26
	s_add_i32 s11, s6, s10
	s_mul_i32 s10, s16, s26
	s_lshl_b64 s[10:11], s[10:11], 3
	s_waitcnt lgkmcnt(0)
	s_add_u32 s6, s0, s10
	s_addc_u32 s13, s1, s11
	s_mul_i32 s0, s18, s3
	s_mul_hi_u32 s1, s18, s2
	s_add_i32 s10, s1, s0
	v_mad_u64_u32 v[1:2], s[0:1], s20, v0, 0
	s_mul_i32 s0, s19, s2
	s_add_i32 s1, s10, s0
	s_mul_i32 s0, s18, s2
	v_mad_u64_u32 v[5:6], s[10:11], s21, v0, v[2:3]
	s_lshl_b64 s[0:1], s[0:1], 3
	s_add_u32 s6, s6, s0
	s_addc_u32 s0, s13, s1
	v_mov_b32_e32 v2, v5
	v_mov_b32_e32 v7, s0
	v_mul_lo_u32 v8, s23, v3
	v_mul_lo_u32 v9, s22, v4
	v_mad_u64_u32 v[5:6], s[0:1], s22, v3, 0
	v_lshlrev_b64 v[1:2], 3, v[1:2]
	v_add_co_u32_e32 v10, vcc, s6, v1
	v_add3_u32 v6, v6, v9, v8
	v_addc_co_u32_e32 v7, vcc, v7, v2, vcc
	v_lshlrev_b64 v[1:2], 3, v[5:6]
	s_mul_i32 s6, s12, s14
	v_add_co_u32_e32 v1, vcc, v10, v1
	v_addc_co_u32_e32 v2, vcc, v7, v2, vcc
	global_load_dwordx2 v[1:2], v[1:2], off
	s_waitcnt vmcnt(0)
	v_cmp_lt_i64_e32 vcc, -1, v[1:2]
	v_cmp_gt_i64_e64 s[0:1], s[6:7], v[1:2]
	s_and_b64 s[0:1], vcc, s[0:1]
	s_and_saveexec_b64 s[10:11], s[0:1]
	s_xor_b64 s[0:1], exec, s[10:11]
	s_cbranch_execz .LBB16_6
; %bb.5:
	s_load_dwordx8 s[12:19], s[4:5], 0x28
	s_load_dwordx2 s[10:11], s[4:5], 0x0
	s_waitcnt lgkmcnt(0)
	s_mul_i32 s5, s12, s27
	s_mul_hi_u32 s20, s12, s26
	s_mul_i32 s13, s13, s26
	s_add_i32 s5, s20, s5
	s_mul_i32 s4, s12, s26
	s_add_i32 s5, s5, s13
	s_lshl_b64 s[4:5], s[4:5], 1
	s_add_u32 s10, s10, s4
	s_mul_i32 s3, s14, s3
	s_mul_hi_u32 s4, s14, s2
	s_addc_u32 s11, s11, s5
	s_add_i32 s3, s4, s3
	v_mad_u64_u32 v[5:6], s[4:5], s16, v0, 0
	s_mul_i32 s4, s15, s2
	s_add_i32 s3, s3, s4
	s_mul_i32 s2, s14, s2
	v_mad_u64_u32 v[6:7], s[4:5], s17, v0, v[6:7]
	s_lshl_b64 s[2:3], s[2:3], 1
	s_add_u32 s4, s10, s2
	s_addc_u32 s2, s11, s3
	v_mov_b32_e32 v0, s2
	v_mul_lo_u32 v7, s19, v3
	v_mul_lo_u32 v8, s18, v4
	v_mad_u64_u32 v[3:4], s[2:3], s18, v3, 0
	v_lshlrev_b64 v[5:6], 1, v[5:6]
	s_mul_i32 s2, s6, s27
	v_add3_u32 v4, v4, v8, v7
	v_add_co_u32_e32 v5, vcc, s4, v5
	v_lshlrev_b64 v[3:4], 1, v[3:4]
	v_addc_co_u32_e32 v0, vcc, v0, v6, vcc
	v_add_co_u32_e32 v3, vcc, v5, v3
	v_addc_co_u32_e32 v4, vcc, v0, v4, vcc
	global_load_ushort v3, v[3:4], off
	s_mul_hi_u32 s3, s6, s26
	s_add_i32 s2, s3, s2
	s_mul_i32 s3, s7, s26
	s_add_i32 s3, s2, s3
	s_mul_i32 s2, s6, s26
	s_lshl_b64 s[2:3], s[2:3], 1
	s_add_u32 s2, s8, s2
	v_lshlrev_b64 v[0:1], 1, v[1:2]
	s_addc_u32 s3, s9, s3
	v_mov_b32_e32 v2, s3
	v_add_co_u32_e32 v0, vcc, s2, v0
	v_addc_co_u32_e32 v1, vcc, v2, v1, vcc
	s_waitcnt vmcnt(0)
	global_store_short v[0:1], v3, off
.LBB16_6:
	s_andn2_saveexec_b64 s[0:1], s[0:1]
	s_cbranch_execnz .LBB16_9
.LBB16_7:
	s_endpgm
.LBB16_8:
                                        ; implicit-def: $sgpr26_sgpr27
	s_load_dword s8, s[4:5], 0xc4
	s_branch .LBB16_2
.LBB16_9:
	s_trap 2
	; divergent unreachable
	s_endpgm
	.section	.rodata,"a",@progbits
	.p2align	6, 0x0
	.amdhsa_kernel _ZN2at6native30max_unpooling3d_forward_kernelIN3c104HalfEEEvN5torch10headeronly6detail27GenericPackedTensorAccessorINS6_14TensorAccessorINS2_8ArrayRefIlEEKT_Lm3ENS5_16DefaultPtrTraitsElEENS_6detail16IndexBoundsCheckILm4ElEESC_Lm4ESD_lEENS7_INS8_ISA_KlLm3ESD_lEESH_SJ_Lm4ESD_lEEPSB_llll
		.amdhsa_group_segment_fixed_size 0
		.amdhsa_private_segment_fixed_size 0
		.amdhsa_kernarg_size 440
		.amdhsa_user_sgpr_count 6
		.amdhsa_user_sgpr_private_segment_buffer 1
		.amdhsa_user_sgpr_dispatch_ptr 0
		.amdhsa_user_sgpr_queue_ptr 0
		.amdhsa_user_sgpr_kernarg_segment_ptr 1
		.amdhsa_user_sgpr_dispatch_id 0
		.amdhsa_user_sgpr_flat_scratch_init 0
		.amdhsa_user_sgpr_private_segment_size 0
		.amdhsa_uses_dynamic_stack 0
		.amdhsa_system_sgpr_private_segment_wavefront_offset 0
		.amdhsa_system_sgpr_workgroup_id_x 1
		.amdhsa_system_sgpr_workgroup_id_y 1
		.amdhsa_system_sgpr_workgroup_id_z 1
		.amdhsa_system_sgpr_workgroup_info 0
		.amdhsa_system_vgpr_workitem_id 1
		.amdhsa_next_free_vgpr 11
		.amdhsa_next_free_sgpr 28
		.amdhsa_reserve_vcc 1
		.amdhsa_reserve_flat_scratch 0
		.amdhsa_float_round_mode_32 0
		.amdhsa_float_round_mode_16_64 0
		.amdhsa_float_denorm_mode_32 3
		.amdhsa_float_denorm_mode_16_64 3
		.amdhsa_dx10_clamp 1
		.amdhsa_ieee_mode 1
		.amdhsa_fp16_overflow 0
		.amdhsa_exception_fp_ieee_invalid_op 0
		.amdhsa_exception_fp_denorm_src 0
		.amdhsa_exception_fp_ieee_div_zero 0
		.amdhsa_exception_fp_ieee_overflow 0
		.amdhsa_exception_fp_ieee_underflow 0
		.amdhsa_exception_fp_ieee_inexact 0
		.amdhsa_exception_int_div_zero 0
	.end_amdhsa_kernel
	.section	.text._ZN2at6native30max_unpooling3d_forward_kernelIN3c104HalfEEEvN5torch10headeronly6detail27GenericPackedTensorAccessorINS6_14TensorAccessorINS2_8ArrayRefIlEEKT_Lm3ENS5_16DefaultPtrTraitsElEENS_6detail16IndexBoundsCheckILm4ElEESC_Lm4ESD_lEENS7_INS8_ISA_KlLm3ESD_lEESH_SJ_Lm4ESD_lEEPSB_llll,"axG",@progbits,_ZN2at6native30max_unpooling3d_forward_kernelIN3c104HalfEEEvN5torch10headeronly6detail27GenericPackedTensorAccessorINS6_14TensorAccessorINS2_8ArrayRefIlEEKT_Lm3ENS5_16DefaultPtrTraitsElEENS_6detail16IndexBoundsCheckILm4ElEESC_Lm4ESD_lEENS7_INS8_ISA_KlLm3ESD_lEESH_SJ_Lm4ESD_lEEPSB_llll,comdat
.Lfunc_end16:
	.size	_ZN2at6native30max_unpooling3d_forward_kernelIN3c104HalfEEEvN5torch10headeronly6detail27GenericPackedTensorAccessorINS6_14TensorAccessorINS2_8ArrayRefIlEEKT_Lm3ENS5_16DefaultPtrTraitsElEENS_6detail16IndexBoundsCheckILm4ElEESC_Lm4ESD_lEENS7_INS8_ISA_KlLm3ESD_lEESH_SJ_Lm4ESD_lEEPSB_llll, .Lfunc_end16-_ZN2at6native30max_unpooling3d_forward_kernelIN3c104HalfEEEvN5torch10headeronly6detail27GenericPackedTensorAccessorINS6_14TensorAccessorINS2_8ArrayRefIlEEKT_Lm3ENS5_16DefaultPtrTraitsElEENS_6detail16IndexBoundsCheckILm4ElEESC_Lm4ESD_lEENS7_INS8_ISA_KlLm3ESD_lEESH_SJ_Lm4ESD_lEEPSB_llll
                                        ; -- End function
	.set _ZN2at6native30max_unpooling3d_forward_kernelIN3c104HalfEEEvN5torch10headeronly6detail27GenericPackedTensorAccessorINS6_14TensorAccessorINS2_8ArrayRefIlEEKT_Lm3ENS5_16DefaultPtrTraitsElEENS_6detail16IndexBoundsCheckILm4ElEESC_Lm4ESD_lEENS7_INS8_ISA_KlLm3ESD_lEESH_SJ_Lm4ESD_lEEPSB_llll.num_vgpr, 11
	.set _ZN2at6native30max_unpooling3d_forward_kernelIN3c104HalfEEEvN5torch10headeronly6detail27GenericPackedTensorAccessorINS6_14TensorAccessorINS2_8ArrayRefIlEEKT_Lm3ENS5_16DefaultPtrTraitsElEENS_6detail16IndexBoundsCheckILm4ElEESC_Lm4ESD_lEENS7_INS8_ISA_KlLm3ESD_lEESH_SJ_Lm4ESD_lEEPSB_llll.num_agpr, 0
	.set _ZN2at6native30max_unpooling3d_forward_kernelIN3c104HalfEEEvN5torch10headeronly6detail27GenericPackedTensorAccessorINS6_14TensorAccessorINS2_8ArrayRefIlEEKT_Lm3ENS5_16DefaultPtrTraitsElEENS_6detail16IndexBoundsCheckILm4ElEESC_Lm4ESD_lEENS7_INS8_ISA_KlLm3ESD_lEESH_SJ_Lm4ESD_lEEPSB_llll.numbered_sgpr, 28
	.set _ZN2at6native30max_unpooling3d_forward_kernelIN3c104HalfEEEvN5torch10headeronly6detail27GenericPackedTensorAccessorINS6_14TensorAccessorINS2_8ArrayRefIlEEKT_Lm3ENS5_16DefaultPtrTraitsElEENS_6detail16IndexBoundsCheckILm4ElEESC_Lm4ESD_lEENS7_INS8_ISA_KlLm3ESD_lEESH_SJ_Lm4ESD_lEEPSB_llll.num_named_barrier, 0
	.set _ZN2at6native30max_unpooling3d_forward_kernelIN3c104HalfEEEvN5torch10headeronly6detail27GenericPackedTensorAccessorINS6_14TensorAccessorINS2_8ArrayRefIlEEKT_Lm3ENS5_16DefaultPtrTraitsElEENS_6detail16IndexBoundsCheckILm4ElEESC_Lm4ESD_lEENS7_INS8_ISA_KlLm3ESD_lEESH_SJ_Lm4ESD_lEEPSB_llll.private_seg_size, 0
	.set _ZN2at6native30max_unpooling3d_forward_kernelIN3c104HalfEEEvN5torch10headeronly6detail27GenericPackedTensorAccessorINS6_14TensorAccessorINS2_8ArrayRefIlEEKT_Lm3ENS5_16DefaultPtrTraitsElEENS_6detail16IndexBoundsCheckILm4ElEESC_Lm4ESD_lEENS7_INS8_ISA_KlLm3ESD_lEESH_SJ_Lm4ESD_lEEPSB_llll.uses_vcc, 1
	.set _ZN2at6native30max_unpooling3d_forward_kernelIN3c104HalfEEEvN5torch10headeronly6detail27GenericPackedTensorAccessorINS6_14TensorAccessorINS2_8ArrayRefIlEEKT_Lm3ENS5_16DefaultPtrTraitsElEENS_6detail16IndexBoundsCheckILm4ElEESC_Lm4ESD_lEENS7_INS8_ISA_KlLm3ESD_lEESH_SJ_Lm4ESD_lEEPSB_llll.uses_flat_scratch, 0
	.set _ZN2at6native30max_unpooling3d_forward_kernelIN3c104HalfEEEvN5torch10headeronly6detail27GenericPackedTensorAccessorINS6_14TensorAccessorINS2_8ArrayRefIlEEKT_Lm3ENS5_16DefaultPtrTraitsElEENS_6detail16IndexBoundsCheckILm4ElEESC_Lm4ESD_lEENS7_INS8_ISA_KlLm3ESD_lEESH_SJ_Lm4ESD_lEEPSB_llll.has_dyn_sized_stack, 0
	.set _ZN2at6native30max_unpooling3d_forward_kernelIN3c104HalfEEEvN5torch10headeronly6detail27GenericPackedTensorAccessorINS6_14TensorAccessorINS2_8ArrayRefIlEEKT_Lm3ENS5_16DefaultPtrTraitsElEENS_6detail16IndexBoundsCheckILm4ElEESC_Lm4ESD_lEENS7_INS8_ISA_KlLm3ESD_lEESH_SJ_Lm4ESD_lEEPSB_llll.has_recursion, 0
	.set _ZN2at6native30max_unpooling3d_forward_kernelIN3c104HalfEEEvN5torch10headeronly6detail27GenericPackedTensorAccessorINS6_14TensorAccessorINS2_8ArrayRefIlEEKT_Lm3ENS5_16DefaultPtrTraitsElEENS_6detail16IndexBoundsCheckILm4ElEESC_Lm4ESD_lEENS7_INS8_ISA_KlLm3ESD_lEESH_SJ_Lm4ESD_lEEPSB_llll.has_indirect_call, 0
	.section	.AMDGPU.csdata,"",@progbits
; Kernel info:
; codeLenInByte = 1364
; TotalNumSgprs: 32
; NumVgprs: 11
; ScratchSize: 0
; MemoryBound: 0
; FloatMode: 240
; IeeeMode: 1
; LDSByteSize: 0 bytes/workgroup (compile time only)
; SGPRBlocks: 3
; VGPRBlocks: 2
; NumSGPRsForWavesPerEU: 32
; NumVGPRsForWavesPerEU: 11
; Occupancy: 10
; WaveLimiterHint : 1
; COMPUTE_PGM_RSRC2:SCRATCH_EN: 0
; COMPUTE_PGM_RSRC2:USER_SGPR: 6
; COMPUTE_PGM_RSRC2:TRAP_HANDLER: 0
; COMPUTE_PGM_RSRC2:TGID_X_EN: 1
; COMPUTE_PGM_RSRC2:TGID_Y_EN: 1
; COMPUTE_PGM_RSRC2:TGID_Z_EN: 1
; COMPUTE_PGM_RSRC2:TIDIG_COMP_CNT: 1
	.section	.text._ZN2at6native30max_unpooling3d_forward_kernelIN3c108BFloat16EEEvN5torch10headeronly6detail27GenericPackedTensorAccessorINS6_14TensorAccessorINS2_8ArrayRefIlEEKT_Lm3ENS5_16DefaultPtrTraitsElEENS_6detail16IndexBoundsCheckILm4ElEESC_Lm4ESD_lEENS7_INS8_ISA_KlLm3ESD_lEESH_SJ_Lm4ESD_lEEPSB_llll,"axG",@progbits,_ZN2at6native30max_unpooling3d_forward_kernelIN3c108BFloat16EEEvN5torch10headeronly6detail27GenericPackedTensorAccessorINS6_14TensorAccessorINS2_8ArrayRefIlEEKT_Lm3ENS5_16DefaultPtrTraitsElEENS_6detail16IndexBoundsCheckILm4ElEESC_Lm4ESD_lEENS7_INS8_ISA_KlLm3ESD_lEESH_SJ_Lm4ESD_lEEPSB_llll,comdat
	.protected	_ZN2at6native30max_unpooling3d_forward_kernelIN3c108BFloat16EEEvN5torch10headeronly6detail27GenericPackedTensorAccessorINS6_14TensorAccessorINS2_8ArrayRefIlEEKT_Lm3ENS5_16DefaultPtrTraitsElEENS_6detail16IndexBoundsCheckILm4ElEESC_Lm4ESD_lEENS7_INS8_ISA_KlLm3ESD_lEESH_SJ_Lm4ESD_lEEPSB_llll ; -- Begin function _ZN2at6native30max_unpooling3d_forward_kernelIN3c108BFloat16EEEvN5torch10headeronly6detail27GenericPackedTensorAccessorINS6_14TensorAccessorINS2_8ArrayRefIlEEKT_Lm3ENS5_16DefaultPtrTraitsElEENS_6detail16IndexBoundsCheckILm4ElEESC_Lm4ESD_lEENS7_INS8_ISA_KlLm3ESD_lEESH_SJ_Lm4ESD_lEEPSB_llll
	.globl	_ZN2at6native30max_unpooling3d_forward_kernelIN3c108BFloat16EEEvN5torch10headeronly6detail27GenericPackedTensorAccessorINS6_14TensorAccessorINS2_8ArrayRefIlEEKT_Lm3ENS5_16DefaultPtrTraitsElEENS_6detail16IndexBoundsCheckILm4ElEESC_Lm4ESD_lEENS7_INS8_ISA_KlLm3ESD_lEESH_SJ_Lm4ESD_lEEPSB_llll
	.p2align	8
	.type	_ZN2at6native30max_unpooling3d_forward_kernelIN3c108BFloat16EEEvN5torch10headeronly6detail27GenericPackedTensorAccessorINS6_14TensorAccessorINS2_8ArrayRefIlEEKT_Lm3ENS5_16DefaultPtrTraitsElEENS_6detail16IndexBoundsCheckILm4ElEESC_Lm4ESD_lEENS7_INS8_ISA_KlLm3ESD_lEESH_SJ_Lm4ESD_lEEPSB_llll,@function
_ZN2at6native30max_unpooling3d_forward_kernelIN3c108BFloat16EEEvN5torch10headeronly6detail27GenericPackedTensorAccessorINS6_14TensorAccessorINS2_8ArrayRefIlEEKT_Lm3ENS5_16DefaultPtrTraitsElEENS_6detail16IndexBoundsCheckILm4ElEESC_Lm4ESD_lEENS7_INS8_ISA_KlLm3ESD_lEESH_SJ_Lm4ESD_lEEPSB_llll: ; @_ZN2at6native30max_unpooling3d_forward_kernelIN3c108BFloat16EEEvN5torch10headeronly6detail27GenericPackedTensorAccessorINS6_14TensorAccessorINS2_8ArrayRefIlEEKT_Lm3ENS5_16DefaultPtrTraitsElEENS_6detail16IndexBoundsCheckILm4ElEESC_Lm4ESD_lEENS7_INS8_ISA_KlLm3ESD_lEESH_SJ_Lm4ESD_lEEPSB_llll
; %bb.0:
	s_load_dwordx2 s[0:1], s[4:5], 0xb0
	s_load_dwordx2 s[24:25], s[4:5], 0x10
	s_mov_b32 s10, 0
	v_mov_b32_e32 v2, v1
	s_waitcnt lgkmcnt(0)
	s_add_u32 s2, s0, s8
	s_addc_u32 s3, s1, 0
	s_or_b64 s[0:1], s[2:3], s[24:25]
	s_mov_b32 s11, s1
	s_cmp_lg_u64 s[10:11], 0
	s_cbranch_scc0 .LBB17_8
; %bb.1:
	s_ashr_i32 s8, s25, 31
	s_add_u32 s0, s24, s8
	s_mov_b32 s9, s8
	s_addc_u32 s1, s25, s8
	s_xor_b64 s[10:11], s[0:1], s[8:9]
	v_cvt_f32_u32_e32 v1, s10
	v_cvt_f32_u32_e32 v3, s11
	s_sub_u32 s14, 0, s10
	s_subb_u32 s15, 0, s11
	v_madmk_f32 v1, v3, 0x4f800000, v1
	v_rcp_f32_e32 v1, v1
	v_mul_f32_e32 v1, 0x5f7ffffc, v1
	v_mul_f32_e32 v3, 0x2f800000, v1
	v_trunc_f32_e32 v3, v3
	v_madmk_f32 v1, v3, 0xcf800000, v1
	v_cvt_u32_f32_e32 v3, v3
	v_cvt_u32_f32_e32 v1, v1
	v_readfirstlane_b32 s16, v3
	v_readfirstlane_b32 s12, v1
	s_mul_i32 s13, s14, s16
	s_mul_hi_u32 s18, s14, s12
	s_mul_i32 s17, s15, s12
	s_add_i32 s13, s18, s13
	s_add_i32 s13, s13, s17
	s_mul_i32 s19, s14, s12
	s_mul_i32 s18, s12, s13
	s_mul_hi_u32 s20, s12, s19
	s_mul_hi_u32 s17, s12, s13
	s_add_u32 s18, s20, s18
	s_addc_u32 s17, 0, s17
	s_mul_hi_u32 s21, s16, s19
	s_mul_i32 s19, s16, s19
	s_add_u32 s18, s18, s19
	s_mul_hi_u32 s20, s16, s13
	s_addc_u32 s17, s17, s21
	s_addc_u32 s18, s20, 0
	s_mul_i32 s13, s16, s13
	s_add_u32 s13, s17, s13
	s_addc_u32 s17, 0, s18
	s_add_u32 s18, s12, s13
	s_cselect_b64 s[12:13], -1, 0
	s_cmp_lg_u64 s[12:13], 0
	s_addc_u32 s16, s16, s17
	s_mul_i32 s12, s14, s16
	s_mul_hi_u32 s13, s14, s18
	s_add_i32 s12, s13, s12
	s_mul_i32 s15, s15, s18
	s_add_i32 s12, s12, s15
	s_mul_i32 s14, s14, s18
	s_mul_hi_u32 s15, s16, s14
	s_mul_i32 s17, s16, s14
	s_mul_i32 s20, s18, s12
	s_mul_hi_u32 s14, s18, s14
	s_mul_hi_u32 s19, s18, s12
	s_add_u32 s14, s14, s20
	s_addc_u32 s19, 0, s19
	s_add_u32 s14, s14, s17
	s_mul_hi_u32 s13, s16, s12
	s_addc_u32 s14, s19, s15
	s_addc_u32 s13, s13, 0
	s_mul_i32 s12, s16, s12
	s_add_u32 s12, s14, s12
	s_addc_u32 s14, 0, s13
	s_add_u32 s17, s18, s12
	s_cselect_b64 s[12:13], -1, 0
	s_cmp_lg_u64 s[12:13], 0
	s_addc_u32 s16, s16, s14
	s_ashr_i32 s12, s3, 31
	s_add_u32 s14, s2, s12
	s_mov_b32 s13, s12
	s_addc_u32 s15, s3, s12
	s_xor_b64 s[14:15], s[14:15], s[12:13]
	s_mul_i32 s19, s14, s16
	s_mul_hi_u32 s20, s14, s17
	s_mul_hi_u32 s18, s14, s16
	s_add_u32 s19, s20, s19
	s_addc_u32 s18, 0, s18
	s_mul_hi_u32 s21, s15, s17
	s_mul_i32 s17, s15, s17
	s_add_u32 s17, s19, s17
	s_mul_hi_u32 s20, s15, s16
	s_addc_u32 s17, s18, s21
	s_addc_u32 s18, s20, 0
	s_mul_i32 s16, s15, s16
	s_add_u32 s20, s17, s16
	s_addc_u32 s21, 0, s18
	s_mul_i32 s16, s10, s21
	s_mul_hi_u32 s17, s10, s20
	s_add_i32 s16, s17, s16
	s_mul_i32 s17, s11, s20
	s_add_i32 s22, s16, s17
	s_sub_i32 s18, s15, s22
	s_mul_i32 s16, s10, s20
	s_sub_u32 s14, s14, s16
	s_cselect_b64 s[16:17], -1, 0
	s_cmp_lg_u64 s[16:17], 0
	s_subb_u32 s23, s18, s11
	s_sub_u32 s26, s14, s10
	s_cselect_b64 s[18:19], -1, 0
	s_cmp_lg_u64 s[18:19], 0
	s_subb_u32 s18, s23, 0
	s_cmp_ge_u32 s18, s11
	s_cselect_b32 s19, -1, 0
	s_cmp_ge_u32 s26, s10
	s_cselect_b32 s23, -1, 0
	s_cmp_eq_u32 s18, s11
	s_cselect_b32 s18, s23, s19
	s_add_u32 s19, s20, 1
	s_addc_u32 s23, s21, 0
	s_add_u32 s26, s20, 2
	s_addc_u32 s27, s21, 0
	s_cmp_lg_u32 s18, 0
	s_cselect_b32 s18, s26, s19
	s_cselect_b32 s19, s27, s23
	s_cmp_lg_u64 s[16:17], 0
	s_subb_u32 s15, s15, s22
	s_cmp_ge_u32 s15, s11
	s_cselect_b32 s16, -1, 0
	s_cmp_ge_u32 s14, s10
	s_cselect_b32 s10, -1, 0
	s_cmp_eq_u32 s15, s11
	s_cselect_b32 s10, s10, s16
	s_cmp_lg_u32 s10, 0
	s_cselect_b32 s11, s19, s21
	s_cselect_b32 s10, s18, s20
	s_xor_b64 s[8:9], s[12:13], s[8:9]
	s_xor_b64 s[10:11], s[10:11], s[8:9]
	s_sub_u32 s26, s10, s8
	s_subb_u32 s27, s11, s9
	s_load_dword s8, s[4:5], 0xc4
	s_cbranch_execnz .LBB17_3
.LBB17_2:
	v_cvt_f32_u32_e32 v1, s24
	s_sub_i32 s0, 0, s24
	s_mov_b32 s27, 0
	v_rcp_iflag_f32_e32 v1, v1
	v_mul_f32_e32 v1, 0x4f7ffffe, v1
	v_cvt_u32_f32_e32 v1, v1
	v_readfirstlane_b32 s1, v1
	s_mul_i32 s0, s0, s1
	s_mul_hi_u32 s0, s1, s0
	s_add_i32 s1, s1, s0
	s_mul_hi_u32 s0, s2, s1
	s_mul_i32 s9, s0, s24
	s_sub_i32 s9, s2, s9
	s_add_i32 s1, s0, 1
	s_sub_i32 s10, s9, s24
	s_cmp_ge_u32 s9, s24
	s_cselect_b32 s0, s1, s0
	s_cselect_b32 s9, s10, s9
	s_add_i32 s1, s0, 1
	s_cmp_ge_u32 s9, s24
	s_cselect_b32 s26, s1, s0
.LBB17_3:
	s_waitcnt lgkmcnt(0)
	s_lshr_b32 s12, s8, 16
	v_mov_b32_e32 v1, 0
	s_and_b32 s0, s8, 0xffff
	v_mov_b32_e32 v3, s6
	s_load_dwordx4 s[8:11], s[4:5], 0x18
	v_mad_u64_u32 v[3:4], s[0:1], s0, v3, v[0:1]
	s_mul_i32 s7, s7, s12
	v_add_u32_e32 v0, s7, v2
	s_waitcnt lgkmcnt(0)
	v_cmp_gt_i64_e32 vcc, s[8:9], v[0:1]
	v_cmp_gt_i64_e64 s[0:1], s[10:11], v[3:4]
	s_and_b64 s[0:1], vcc, s[0:1]
	s_and_saveexec_b64 s[6:7], s[0:1]
	s_cbranch_execz .LBB17_7
; %bb.4:
	s_load_dwordx8 s[8:15], s[4:5], 0x90
	s_load_dwordx8 s[16:23], s[4:5], 0x70
	s_waitcnt lgkmcnt(0)
	s_mul_i32 s0, s12, s11
	s_mul_hi_u32 s1, s12, s10
	s_mul_i32 s6, s13, s10
	s_mul_i32 s12, s12, s10
	s_add_i32 s0, s1, s0
	s_mul_i32 s1, s12, s15
	s_add_i32 s0, s0, s6
	s_mul_hi_u32 s6, s12, s14
	s_add_i32 s1, s6, s1
	s_mul_i32 s0, s0, s14
	s_add_i32 s7, s1, s0
	s_mul_i32 s0, s26, s25
	s_mul_hi_u32 s1, s26, s24
	s_add_i32 s0, s1, s0
	s_mul_i32 s1, s27, s24
	s_add_i32 s0, s0, s1
	s_mul_i32 s1, s26, s24
	s_sub_u32 s2, s2, s1
	s_subb_u32 s3, s3, s0
	s_load_dwordx2 s[0:1], s[4:5], 0x48
	s_mul_i32 s6, s16, s27
	s_mul_hi_u32 s10, s16, s26
	s_add_i32 s6, s10, s6
	s_mul_i32 s10, s17, s26
	s_add_i32 s11, s6, s10
	s_mul_i32 s10, s16, s26
	s_lshl_b64 s[10:11], s[10:11], 3
	s_waitcnt lgkmcnt(0)
	s_add_u32 s6, s0, s10
	s_addc_u32 s13, s1, s11
	s_mul_i32 s0, s18, s3
	s_mul_hi_u32 s1, s18, s2
	s_add_i32 s10, s1, s0
	v_mad_u64_u32 v[1:2], s[0:1], s20, v0, 0
	s_mul_i32 s0, s19, s2
	s_add_i32 s1, s10, s0
	s_mul_i32 s0, s18, s2
	v_mad_u64_u32 v[5:6], s[10:11], s21, v0, v[2:3]
	s_lshl_b64 s[0:1], s[0:1], 3
	s_add_u32 s6, s6, s0
	s_addc_u32 s0, s13, s1
	v_mov_b32_e32 v2, v5
	v_mov_b32_e32 v7, s0
	v_mul_lo_u32 v8, s23, v3
	v_mul_lo_u32 v9, s22, v4
	v_mad_u64_u32 v[5:6], s[0:1], s22, v3, 0
	v_lshlrev_b64 v[1:2], 3, v[1:2]
	v_add_co_u32_e32 v10, vcc, s6, v1
	v_add3_u32 v6, v6, v9, v8
	v_addc_co_u32_e32 v7, vcc, v7, v2, vcc
	v_lshlrev_b64 v[1:2], 3, v[5:6]
	s_mul_i32 s6, s12, s14
	v_add_co_u32_e32 v1, vcc, v10, v1
	v_addc_co_u32_e32 v2, vcc, v7, v2, vcc
	global_load_dwordx2 v[1:2], v[1:2], off
	s_waitcnt vmcnt(0)
	v_cmp_lt_i64_e32 vcc, -1, v[1:2]
	v_cmp_gt_i64_e64 s[0:1], s[6:7], v[1:2]
	s_and_b64 s[0:1], vcc, s[0:1]
	s_and_saveexec_b64 s[10:11], s[0:1]
	s_xor_b64 s[0:1], exec, s[10:11]
	s_cbranch_execz .LBB17_6
; %bb.5:
	s_load_dwordx8 s[12:19], s[4:5], 0x28
	s_load_dwordx2 s[10:11], s[4:5], 0x0
	s_waitcnt lgkmcnt(0)
	s_mul_i32 s5, s12, s27
	s_mul_hi_u32 s20, s12, s26
	s_mul_i32 s13, s13, s26
	s_add_i32 s5, s20, s5
	s_mul_i32 s4, s12, s26
	s_add_i32 s5, s5, s13
	s_lshl_b64 s[4:5], s[4:5], 1
	s_add_u32 s10, s10, s4
	s_mul_i32 s3, s14, s3
	s_mul_hi_u32 s4, s14, s2
	s_addc_u32 s11, s11, s5
	s_add_i32 s3, s4, s3
	v_mad_u64_u32 v[5:6], s[4:5], s16, v0, 0
	s_mul_i32 s4, s15, s2
	s_add_i32 s3, s3, s4
	s_mul_i32 s2, s14, s2
	v_mad_u64_u32 v[6:7], s[4:5], s17, v0, v[6:7]
	s_lshl_b64 s[2:3], s[2:3], 1
	s_add_u32 s4, s10, s2
	s_addc_u32 s2, s11, s3
	v_mov_b32_e32 v0, s2
	v_mul_lo_u32 v7, s19, v3
	v_mul_lo_u32 v8, s18, v4
	v_mad_u64_u32 v[3:4], s[2:3], s18, v3, 0
	v_lshlrev_b64 v[5:6], 1, v[5:6]
	s_mul_i32 s2, s6, s27
	v_add3_u32 v4, v4, v8, v7
	v_add_co_u32_e32 v5, vcc, s4, v5
	v_lshlrev_b64 v[3:4], 1, v[3:4]
	v_addc_co_u32_e32 v0, vcc, v0, v6, vcc
	v_add_co_u32_e32 v3, vcc, v5, v3
	v_addc_co_u32_e32 v4, vcc, v0, v4, vcc
	global_load_ushort v3, v[3:4], off
	s_mul_hi_u32 s3, s6, s26
	s_add_i32 s2, s3, s2
	s_mul_i32 s3, s7, s26
	s_add_i32 s3, s2, s3
	s_mul_i32 s2, s6, s26
	s_lshl_b64 s[2:3], s[2:3], 1
	s_add_u32 s2, s8, s2
	v_lshlrev_b64 v[0:1], 1, v[1:2]
	s_addc_u32 s3, s9, s3
	v_mov_b32_e32 v2, s3
	v_add_co_u32_e32 v0, vcc, s2, v0
	v_addc_co_u32_e32 v1, vcc, v2, v1, vcc
	s_waitcnt vmcnt(0)
	global_store_short v[0:1], v3, off
.LBB17_6:
	s_andn2_saveexec_b64 s[0:1], s[0:1]
	s_cbranch_execnz .LBB17_9
.LBB17_7:
	s_endpgm
.LBB17_8:
                                        ; implicit-def: $sgpr26_sgpr27
	s_load_dword s8, s[4:5], 0xc4
	s_branch .LBB17_2
.LBB17_9:
	s_trap 2
	; divergent unreachable
	s_endpgm
	.section	.rodata,"a",@progbits
	.p2align	6, 0x0
	.amdhsa_kernel _ZN2at6native30max_unpooling3d_forward_kernelIN3c108BFloat16EEEvN5torch10headeronly6detail27GenericPackedTensorAccessorINS6_14TensorAccessorINS2_8ArrayRefIlEEKT_Lm3ENS5_16DefaultPtrTraitsElEENS_6detail16IndexBoundsCheckILm4ElEESC_Lm4ESD_lEENS7_INS8_ISA_KlLm3ESD_lEESH_SJ_Lm4ESD_lEEPSB_llll
		.amdhsa_group_segment_fixed_size 0
		.amdhsa_private_segment_fixed_size 0
		.amdhsa_kernarg_size 440
		.amdhsa_user_sgpr_count 6
		.amdhsa_user_sgpr_private_segment_buffer 1
		.amdhsa_user_sgpr_dispatch_ptr 0
		.amdhsa_user_sgpr_queue_ptr 0
		.amdhsa_user_sgpr_kernarg_segment_ptr 1
		.amdhsa_user_sgpr_dispatch_id 0
		.amdhsa_user_sgpr_flat_scratch_init 0
		.amdhsa_user_sgpr_private_segment_size 0
		.amdhsa_uses_dynamic_stack 0
		.amdhsa_system_sgpr_private_segment_wavefront_offset 0
		.amdhsa_system_sgpr_workgroup_id_x 1
		.amdhsa_system_sgpr_workgroup_id_y 1
		.amdhsa_system_sgpr_workgroup_id_z 1
		.amdhsa_system_sgpr_workgroup_info 0
		.amdhsa_system_vgpr_workitem_id 1
		.amdhsa_next_free_vgpr 11
		.amdhsa_next_free_sgpr 28
		.amdhsa_reserve_vcc 1
		.amdhsa_reserve_flat_scratch 0
		.amdhsa_float_round_mode_32 0
		.amdhsa_float_round_mode_16_64 0
		.amdhsa_float_denorm_mode_32 3
		.amdhsa_float_denorm_mode_16_64 3
		.amdhsa_dx10_clamp 1
		.amdhsa_ieee_mode 1
		.amdhsa_fp16_overflow 0
		.amdhsa_exception_fp_ieee_invalid_op 0
		.amdhsa_exception_fp_denorm_src 0
		.amdhsa_exception_fp_ieee_div_zero 0
		.amdhsa_exception_fp_ieee_overflow 0
		.amdhsa_exception_fp_ieee_underflow 0
		.amdhsa_exception_fp_ieee_inexact 0
		.amdhsa_exception_int_div_zero 0
	.end_amdhsa_kernel
	.section	.text._ZN2at6native30max_unpooling3d_forward_kernelIN3c108BFloat16EEEvN5torch10headeronly6detail27GenericPackedTensorAccessorINS6_14TensorAccessorINS2_8ArrayRefIlEEKT_Lm3ENS5_16DefaultPtrTraitsElEENS_6detail16IndexBoundsCheckILm4ElEESC_Lm4ESD_lEENS7_INS8_ISA_KlLm3ESD_lEESH_SJ_Lm4ESD_lEEPSB_llll,"axG",@progbits,_ZN2at6native30max_unpooling3d_forward_kernelIN3c108BFloat16EEEvN5torch10headeronly6detail27GenericPackedTensorAccessorINS6_14TensorAccessorINS2_8ArrayRefIlEEKT_Lm3ENS5_16DefaultPtrTraitsElEENS_6detail16IndexBoundsCheckILm4ElEESC_Lm4ESD_lEENS7_INS8_ISA_KlLm3ESD_lEESH_SJ_Lm4ESD_lEEPSB_llll,comdat
.Lfunc_end17:
	.size	_ZN2at6native30max_unpooling3d_forward_kernelIN3c108BFloat16EEEvN5torch10headeronly6detail27GenericPackedTensorAccessorINS6_14TensorAccessorINS2_8ArrayRefIlEEKT_Lm3ENS5_16DefaultPtrTraitsElEENS_6detail16IndexBoundsCheckILm4ElEESC_Lm4ESD_lEENS7_INS8_ISA_KlLm3ESD_lEESH_SJ_Lm4ESD_lEEPSB_llll, .Lfunc_end17-_ZN2at6native30max_unpooling3d_forward_kernelIN3c108BFloat16EEEvN5torch10headeronly6detail27GenericPackedTensorAccessorINS6_14TensorAccessorINS2_8ArrayRefIlEEKT_Lm3ENS5_16DefaultPtrTraitsElEENS_6detail16IndexBoundsCheckILm4ElEESC_Lm4ESD_lEENS7_INS8_ISA_KlLm3ESD_lEESH_SJ_Lm4ESD_lEEPSB_llll
                                        ; -- End function
	.set _ZN2at6native30max_unpooling3d_forward_kernelIN3c108BFloat16EEEvN5torch10headeronly6detail27GenericPackedTensorAccessorINS6_14TensorAccessorINS2_8ArrayRefIlEEKT_Lm3ENS5_16DefaultPtrTraitsElEENS_6detail16IndexBoundsCheckILm4ElEESC_Lm4ESD_lEENS7_INS8_ISA_KlLm3ESD_lEESH_SJ_Lm4ESD_lEEPSB_llll.num_vgpr, 11
	.set _ZN2at6native30max_unpooling3d_forward_kernelIN3c108BFloat16EEEvN5torch10headeronly6detail27GenericPackedTensorAccessorINS6_14TensorAccessorINS2_8ArrayRefIlEEKT_Lm3ENS5_16DefaultPtrTraitsElEENS_6detail16IndexBoundsCheckILm4ElEESC_Lm4ESD_lEENS7_INS8_ISA_KlLm3ESD_lEESH_SJ_Lm4ESD_lEEPSB_llll.num_agpr, 0
	.set _ZN2at6native30max_unpooling3d_forward_kernelIN3c108BFloat16EEEvN5torch10headeronly6detail27GenericPackedTensorAccessorINS6_14TensorAccessorINS2_8ArrayRefIlEEKT_Lm3ENS5_16DefaultPtrTraitsElEENS_6detail16IndexBoundsCheckILm4ElEESC_Lm4ESD_lEENS7_INS8_ISA_KlLm3ESD_lEESH_SJ_Lm4ESD_lEEPSB_llll.numbered_sgpr, 28
	.set _ZN2at6native30max_unpooling3d_forward_kernelIN3c108BFloat16EEEvN5torch10headeronly6detail27GenericPackedTensorAccessorINS6_14TensorAccessorINS2_8ArrayRefIlEEKT_Lm3ENS5_16DefaultPtrTraitsElEENS_6detail16IndexBoundsCheckILm4ElEESC_Lm4ESD_lEENS7_INS8_ISA_KlLm3ESD_lEESH_SJ_Lm4ESD_lEEPSB_llll.num_named_barrier, 0
	.set _ZN2at6native30max_unpooling3d_forward_kernelIN3c108BFloat16EEEvN5torch10headeronly6detail27GenericPackedTensorAccessorINS6_14TensorAccessorINS2_8ArrayRefIlEEKT_Lm3ENS5_16DefaultPtrTraitsElEENS_6detail16IndexBoundsCheckILm4ElEESC_Lm4ESD_lEENS7_INS8_ISA_KlLm3ESD_lEESH_SJ_Lm4ESD_lEEPSB_llll.private_seg_size, 0
	.set _ZN2at6native30max_unpooling3d_forward_kernelIN3c108BFloat16EEEvN5torch10headeronly6detail27GenericPackedTensorAccessorINS6_14TensorAccessorINS2_8ArrayRefIlEEKT_Lm3ENS5_16DefaultPtrTraitsElEENS_6detail16IndexBoundsCheckILm4ElEESC_Lm4ESD_lEENS7_INS8_ISA_KlLm3ESD_lEESH_SJ_Lm4ESD_lEEPSB_llll.uses_vcc, 1
	.set _ZN2at6native30max_unpooling3d_forward_kernelIN3c108BFloat16EEEvN5torch10headeronly6detail27GenericPackedTensorAccessorINS6_14TensorAccessorINS2_8ArrayRefIlEEKT_Lm3ENS5_16DefaultPtrTraitsElEENS_6detail16IndexBoundsCheckILm4ElEESC_Lm4ESD_lEENS7_INS8_ISA_KlLm3ESD_lEESH_SJ_Lm4ESD_lEEPSB_llll.uses_flat_scratch, 0
	.set _ZN2at6native30max_unpooling3d_forward_kernelIN3c108BFloat16EEEvN5torch10headeronly6detail27GenericPackedTensorAccessorINS6_14TensorAccessorINS2_8ArrayRefIlEEKT_Lm3ENS5_16DefaultPtrTraitsElEENS_6detail16IndexBoundsCheckILm4ElEESC_Lm4ESD_lEENS7_INS8_ISA_KlLm3ESD_lEESH_SJ_Lm4ESD_lEEPSB_llll.has_dyn_sized_stack, 0
	.set _ZN2at6native30max_unpooling3d_forward_kernelIN3c108BFloat16EEEvN5torch10headeronly6detail27GenericPackedTensorAccessorINS6_14TensorAccessorINS2_8ArrayRefIlEEKT_Lm3ENS5_16DefaultPtrTraitsElEENS_6detail16IndexBoundsCheckILm4ElEESC_Lm4ESD_lEENS7_INS8_ISA_KlLm3ESD_lEESH_SJ_Lm4ESD_lEEPSB_llll.has_recursion, 0
	.set _ZN2at6native30max_unpooling3d_forward_kernelIN3c108BFloat16EEEvN5torch10headeronly6detail27GenericPackedTensorAccessorINS6_14TensorAccessorINS2_8ArrayRefIlEEKT_Lm3ENS5_16DefaultPtrTraitsElEENS_6detail16IndexBoundsCheckILm4ElEESC_Lm4ESD_lEENS7_INS8_ISA_KlLm3ESD_lEESH_SJ_Lm4ESD_lEEPSB_llll.has_indirect_call, 0
	.section	.AMDGPU.csdata,"",@progbits
; Kernel info:
; codeLenInByte = 1364
; TotalNumSgprs: 32
; NumVgprs: 11
; ScratchSize: 0
; MemoryBound: 0
; FloatMode: 240
; IeeeMode: 1
; LDSByteSize: 0 bytes/workgroup (compile time only)
; SGPRBlocks: 3
; VGPRBlocks: 2
; NumSGPRsForWavesPerEU: 32
; NumVGPRsForWavesPerEU: 11
; Occupancy: 10
; WaveLimiterHint : 1
; COMPUTE_PGM_RSRC2:SCRATCH_EN: 0
; COMPUTE_PGM_RSRC2:USER_SGPR: 6
; COMPUTE_PGM_RSRC2:TRAP_HANDLER: 0
; COMPUTE_PGM_RSRC2:TGID_X_EN: 1
; COMPUTE_PGM_RSRC2:TGID_Y_EN: 1
; COMPUTE_PGM_RSRC2:TGID_Z_EN: 1
; COMPUTE_PGM_RSRC2:TIDIG_COMP_CNT: 1
	.section	.text._ZN2at6native31max_unpooling2d_backward_kernelIhEEvlPKT_PKllllllPS2_,"axG",@progbits,_ZN2at6native31max_unpooling2d_backward_kernelIhEEvlPKT_PKllllllPS2_,comdat
	.protected	_ZN2at6native31max_unpooling2d_backward_kernelIhEEvlPKT_PKllllllPS2_ ; -- Begin function _ZN2at6native31max_unpooling2d_backward_kernelIhEEvlPKT_PKllllllPS2_
	.globl	_ZN2at6native31max_unpooling2d_backward_kernelIhEEvlPKT_PKllllllPS2_
	.p2align	8
	.type	_ZN2at6native31max_unpooling2d_backward_kernelIhEEvlPKT_PKllllllPS2_,@function
_ZN2at6native31max_unpooling2d_backward_kernelIhEEvlPKT_PKllllllPS2_: ; @_ZN2at6native31max_unpooling2d_backward_kernelIhEEvlPKT_PKllllllPS2_
; %bb.0:
	s_load_dword s2, s[4:5], 0x54
	s_load_dwordx16 s[8:23], s[4:5], 0x0
	s_add_u32 s0, s4, 0x48
	v_mov_b32_e32 v2, 0
	s_addc_u32 s1, s5, 0
	s_waitcnt lgkmcnt(0)
	s_and_b32 s7, s2, 0xffff
	v_mov_b32_e32 v1, v2
	v_mov_b32_e32 v3, s6
	v_mad_u64_u32 v[0:1], s[2:3], s7, v3, v[0:1]
	v_cmp_gt_i64_e32 vcc, s[8:9], v[0:1]
	s_and_saveexec_b64 s[2:3], vcc
	s_cbranch_execz .LBB18_15
; %bb.1:
	s_load_dwordx2 s[2:3], s[4:5], 0x40
	s_load_dword s6, s[0:1], 0x0
	s_mul_i32 s0, s22, s21
	s_mul_hi_u32 s1, s22, s20
	v_mov_b32_e32 v3, v0
	s_add_i32 s0, s1, s0
	s_mul_i32 s1, s23, s20
	s_waitcnt lgkmcnt(0)
	s_mul_i32 s26, s6, s7
	v_mov_b32_e32 v4, s10
	v_mov_b32_e32 v7, v3
	s_add_i32 s24, s0, s1
	s_mul_i32 s25, s22, s20
	s_mov_b32 s27, s26
	s_mov_b64 s[4:5], 0
	v_mov_b32_e32 v5, s11
	s_ashr_i32 s6, s19, 31
	v_mov_b32_e32 v6, v2
	s_branch .LBB18_3
.LBB18_2:                               ;   in Loop: Header=BB18_3 Depth=1
	s_or_b64 exec, exec, s[0:1]
	v_lshlrev_b64 v[13:14], 3, v[8:9]
	v_mov_b32_e32 v3, s13
	v_add_co_u32_e32 v13, vcc, s12, v13
	v_addc_co_u32_e32 v14, vcc, v3, v14, vcc
	global_load_dword v3, v[13:14], off
	v_mul_lo_u32 v11, v12, s14
	v_ashrrev_i32_e32 v13, 31, v12
	v_mul_lo_u32 v14, v12, s15
	v_mul_lo_u32 v13, v13, s14
	v_sub_u32_e32 v10, v10, v11
	v_ashrrev_i32_e32 v11, 31, v10
	v_mad_u64_u32 v[10:11], s[0:1], v12, s14, v[10:11]
	v_add3_u32 v11, v13, v11, v14
	v_mul_lo_u32 v12, s24, v10
	v_mad_u64_u32 v[4:5], s[0:1], s25, v10, v[4:5]
	v_mul_lo_u32 v10, s25, v11
	v_add_co_u32_e64 v8, s[0:1], s2, v8
	v_add3_u32 v5, v12, v5, v10
	s_waitcnt vmcnt(0)
	v_ashrrev_i32_e32 v11, 31, v3
	v_add_co_u32_e32 v10, vcc, v4, v3
	v_addc_co_u32_e32 v11, vcc, v5, v11, vcc
	global_load_ubyte v3, v[10:11], off
	v_add_co_u32_e32 v0, vcc, s26, v0
	v_addc_co_u32_e32 v1, vcc, 0, v1, vcc
	v_cmp_le_i64_e32 vcc, s[8:9], v[0:1]
	v_mov_b32_e32 v10, s3
	v_mov_b32_e32 v11, s27
	s_or_b64 s[4:5], vcc, s[4:5]
	v_add_co_u32_e32 v6, vcc, 0, v6
	v_addc_co_u32_e64 v9, s[0:1], v10, v9, s[0:1]
	v_addc_co_u32_e32 v7, vcc, v7, v11, vcc
	s_waitcnt vmcnt(0)
	global_store_byte v[8:9], v3, off
	s_andn2_b64 exec, exec, s[4:5]
	s_cbranch_execz .LBB18_15
.LBB18_3:                               ; =>This Inner Loop Header: Depth=1
	v_ashrrev_i32_e32 v9, 31, v7
	v_or_b32_e32 v3, s19, v9
	v_cmp_ne_u64_e32 vcc, 0, v[2:3]
	v_mov_b32_e32 v8, v7
                                        ; implicit-def: $vgpr12_vgpr13
	s_and_saveexec_b64 s[0:1], vcc
	s_xor_b64 s[10:11], exec, s[0:1]
	s_cbranch_execz .LBB18_5
; %bb.4:                                ;   in Loop: Header=BB18_3 Depth=1
	s_add_u32 s0, s18, s6
	s_mov_b32 s7, s6
	s_addc_u32 s1, s19, s6
	s_xor_b64 s[20:21], s[0:1], s[6:7]
	v_cvt_f32_u32_e32 v3, s20
	v_cvt_f32_u32_e32 v10, s21
	s_sub_u32 s7, 0, s20
	s_subb_u32 s22, 0, s21
	v_mac_f32_e32 v3, 0x4f800000, v10
	v_rcp_f32_e32 v3, v3
	v_mul_f32_e32 v3, 0x5f7ffffc, v3
	v_mul_f32_e32 v10, 0x2f800000, v3
	v_trunc_f32_e32 v10, v10
	v_mac_f32_e32 v3, 0xcf800000, v10
	v_cvt_u32_f32_e32 v10, v10
	v_cvt_u32_f32_e32 v3, v3
	v_readfirstlane_b32 s23, v10
	v_readfirstlane_b32 s0, v3
	s_mul_i32 s1, s7, s23
	s_mul_hi_u32 s29, s7, s0
	s_mul_i32 s28, s22, s0
	s_add_i32 s1, s29, s1
	s_add_i32 s1, s1, s28
	s_mul_i32 s30, s7, s0
	s_mul_i32 s29, s0, s1
	s_mul_hi_u32 s31, s0, s30
	s_mul_hi_u32 s28, s0, s1
	s_add_u32 s29, s31, s29
	s_addc_u32 s28, 0, s28
	s_mul_hi_u32 s33, s23, s30
	s_mul_i32 s30, s23, s30
	s_add_u32 s29, s29, s30
	s_mul_hi_u32 s31, s23, s1
	s_addc_u32 s28, s28, s33
	s_addc_u32 s29, s31, 0
	s_mul_i32 s1, s23, s1
	s_add_u32 s1, s28, s1
	s_addc_u32 s28, 0, s29
	s_add_u32 s29, s0, s1
	s_cselect_b64 s[0:1], -1, 0
	s_cmp_lg_u64 s[0:1], 0
	s_addc_u32 s23, s23, s28
	s_mul_i32 s0, s7, s23
	s_mul_hi_u32 s1, s7, s29
	s_add_i32 s0, s1, s0
	s_mul_i32 s22, s22, s29
	s_add_i32 s0, s0, s22
	s_mul_i32 s7, s7, s29
	s_mul_hi_u32 s22, s23, s7
	s_mul_i32 s28, s23, s7
	s_mul_i32 s31, s29, s0
	s_mul_hi_u32 s7, s29, s7
	s_mul_hi_u32 s30, s29, s0
	s_add_u32 s7, s7, s31
	s_addc_u32 s30, 0, s30
	s_add_u32 s7, s7, s28
	s_mul_hi_u32 s1, s23, s0
	s_addc_u32 s7, s30, s22
	s_addc_u32 s1, s1, 0
	s_mul_i32 s0, s23, s0
	s_add_u32 s0, s7, s0
	s_addc_u32 s7, 0, s1
	s_add_u32 s22, s29, s0
	s_cselect_b64 s[0:1], -1, 0
	v_ashrrev_i32_e32 v3, 31, v9
	s_cmp_lg_u64 s[0:1], 0
	v_add_co_u32_e32 v10, vcc, v8, v3
	s_addc_u32 s7, s23, s7
	v_xor_b32_e32 v14, v10, v3
	v_mad_u64_u32 v[10:11], s[0:1], v14, s7, 0
	v_mul_hi_u32 v13, v14, s22
	v_addc_co_u32_e32 v12, vcc, v9, v3, vcc
	v_xor_b32_e32 v15, v12, v3
	v_add_co_u32_e32 v16, vcc, v13, v10
	v_addc_co_u32_e32 v17, vcc, 0, v11, vcc
	v_mad_u64_u32 v[10:11], s[0:1], v15, s22, 0
	v_mad_u64_u32 v[12:13], s[0:1], v15, s7, 0
	v_add_co_u32_e32 v10, vcc, v16, v10
	v_addc_co_u32_e32 v10, vcc, v17, v11, vcc
	v_addc_co_u32_e32 v11, vcc, 0, v13, vcc
	v_add_co_u32_e32 v12, vcc, v10, v12
	v_addc_co_u32_e32 v13, vcc, 0, v11, vcc
	v_mul_lo_u32 v16, s21, v12
	v_mul_lo_u32 v17, s20, v13
	v_mad_u64_u32 v[10:11], s[0:1], s20, v12, 0
	v_xor_b32_e32 v3, s6, v3
	v_add3_u32 v11, v11, v17, v16
	v_sub_u32_e32 v16, v15, v11
	v_mov_b32_e32 v17, s21
	v_sub_co_u32_e32 v10, vcc, v14, v10
	v_subb_co_u32_e64 v14, s[0:1], v16, v17, vcc
	v_subrev_co_u32_e64 v16, s[0:1], s20, v10
	v_subbrev_co_u32_e64 v14, s[0:1], 0, v14, s[0:1]
	v_cmp_le_u32_e64 s[0:1], s21, v14
	v_cndmask_b32_e64 v17, 0, -1, s[0:1]
	v_cmp_le_u32_e64 s[0:1], s20, v16
	v_cndmask_b32_e64 v16, 0, -1, s[0:1]
	v_cmp_eq_u32_e64 s[0:1], s21, v14
	v_cndmask_b32_e64 v14, v17, v16, s[0:1]
	v_add_co_u32_e64 v16, s[0:1], 2, v12
	v_subb_co_u32_e32 v11, vcc, v15, v11, vcc
	v_addc_co_u32_e64 v17, s[0:1], 0, v13, s[0:1]
	v_cmp_le_u32_e32 vcc, s21, v11
	v_add_co_u32_e64 v18, s[0:1], 1, v12
	v_cndmask_b32_e64 v15, 0, -1, vcc
	v_cmp_le_u32_e32 vcc, s20, v10
	v_addc_co_u32_e64 v19, s[0:1], 0, v13, s[0:1]
	v_cndmask_b32_e64 v10, 0, -1, vcc
	v_cmp_eq_u32_e32 vcc, s21, v11
	v_cmp_ne_u32_e64 s[0:1], 0, v14
	v_cndmask_b32_e32 v10, v15, v10, vcc
	v_cmp_ne_u32_e32 vcc, 0, v10
	v_cndmask_b32_e64 v11, v18, v16, s[0:1]
	v_cndmask_b32_e64 v14, v19, v17, s[0:1]
	v_cndmask_b32_e32 v11, v12, v11, vcc
	v_cndmask_b32_e32 v10, v13, v14, vcc
	v_xor_b32_e32 v11, v11, v3
	v_xor_b32_e32 v10, v10, v3
	v_sub_co_u32_e32 v12, vcc, v11, v3
	v_subb_co_u32_e32 v13, vcc, v10, v3, vcc
.LBB18_5:                               ;   in Loop: Header=BB18_3 Depth=1
	s_andn2_saveexec_b64 s[0:1], s[10:11]
	s_cbranch_execz .LBB18_7
; %bb.6:                                ;   in Loop: Header=BB18_3 Depth=1
	v_cvt_f32_u32_e32 v3, s18
	s_sub_i32 s7, 0, s18
	v_mov_b32_e32 v13, v2
	v_rcp_iflag_f32_e32 v3, v3
	v_mul_f32_e32 v3, 0x4f7ffffe, v3
	v_cvt_u32_f32_e32 v3, v3
	v_mul_lo_u32 v10, s7, v3
	v_mul_hi_u32 v10, v3, v10
	v_add_u32_e32 v3, v3, v10
	v_mul_hi_u32 v3, v7, v3
	v_mul_lo_u32 v10, v3, s18
	v_add_u32_e32 v11, 1, v3
	v_sub_u32_e32 v10, v7, v10
	v_subrev_u32_e32 v12, s18, v10
	v_cmp_le_u32_e32 vcc, s18, v10
	v_cndmask_b32_e32 v10, v10, v12, vcc
	v_cndmask_b32_e32 v3, v3, v11, vcc
	v_add_u32_e32 v11, 1, v3
	v_cmp_le_u32_e32 vcc, s18, v10
	v_cndmask_b32_e32 v12, v3, v11, vcc
.LBB18_7:                               ;   in Loop: Header=BB18_3 Depth=1
	s_or_b64 exec, exec, s[0:1]
	v_or_b32_e32 v3, s17, v13
	v_cmp_ne_u64_e32 vcc, 0, v[2:3]
                                        ; implicit-def: $vgpr10_vgpr11
	s_and_saveexec_b64 s[0:1], vcc
	s_xor_b64 s[10:11], exec, s[0:1]
	s_cbranch_execz .LBB18_9
; %bb.8:                                ;   in Loop: Header=BB18_3 Depth=1
	s_ashr_i32 s20, s17, 31
	s_add_u32 s0, s16, s20
	s_mov_b32 s21, s20
	s_addc_u32 s1, s17, s20
	s_xor_b64 s[22:23], s[0:1], s[20:21]
	v_cvt_f32_u32_e32 v3, s22
	v_cvt_f32_u32_e32 v10, s23
	s_sub_u32 s7, 0, s22
	s_subb_u32 s21, 0, s23
	v_mac_f32_e32 v3, 0x4f800000, v10
	v_rcp_f32_e32 v3, v3
	v_mul_f32_e32 v3, 0x5f7ffffc, v3
	v_mul_f32_e32 v10, 0x2f800000, v3
	v_trunc_f32_e32 v10, v10
	v_mac_f32_e32 v3, 0xcf800000, v10
	v_cvt_u32_f32_e32 v10, v10
	v_cvt_u32_f32_e32 v3, v3
	v_readfirstlane_b32 s28, v10
	v_readfirstlane_b32 s0, v3
	s_mul_i32 s1, s7, s28
	s_mul_hi_u32 s30, s7, s0
	s_mul_i32 s29, s21, s0
	s_add_i32 s1, s30, s1
	s_add_i32 s1, s1, s29
	s_mul_i32 s31, s7, s0
	s_mul_i32 s30, s0, s1
	s_mul_hi_u32 s33, s0, s31
	s_mul_hi_u32 s29, s0, s1
	s_add_u32 s30, s33, s30
	s_addc_u32 s29, 0, s29
	s_mul_hi_u32 s34, s28, s31
	s_mul_i32 s31, s28, s31
	s_add_u32 s30, s30, s31
	s_mul_hi_u32 s33, s28, s1
	s_addc_u32 s29, s29, s34
	s_addc_u32 s30, s33, 0
	s_mul_i32 s1, s28, s1
	s_add_u32 s1, s29, s1
	s_addc_u32 s29, 0, s30
	s_add_u32 s30, s0, s1
	s_cselect_b64 s[0:1], -1, 0
	s_cmp_lg_u64 s[0:1], 0
	s_addc_u32 s28, s28, s29
	s_mul_i32 s0, s7, s28
	s_mul_hi_u32 s1, s7, s30
	s_add_i32 s0, s1, s0
	s_mul_i32 s21, s21, s30
	s_add_i32 s0, s0, s21
	s_mul_i32 s7, s7, s30
	s_mul_hi_u32 s21, s28, s7
	s_mul_i32 s29, s28, s7
	s_mul_i32 s33, s30, s0
	s_mul_hi_u32 s7, s30, s7
	s_mul_hi_u32 s31, s30, s0
	s_add_u32 s7, s7, s33
	s_addc_u32 s31, 0, s31
	s_add_u32 s7, s7, s29
	s_mul_hi_u32 s1, s28, s0
	s_addc_u32 s7, s31, s21
	s_addc_u32 s1, s1, 0
	s_mul_i32 s0, s28, s0
	s_add_u32 s0, s7, s0
	s_addc_u32 s7, 0, s1
	s_add_u32 s21, s30, s0
	s_cselect_b64 s[0:1], -1, 0
	v_ashrrev_i32_e32 v3, 31, v13
	s_cmp_lg_u64 s[0:1], 0
	v_add_co_u32_e32 v10, vcc, v12, v3
	s_addc_u32 s7, s28, s7
	v_xor_b32_e32 v14, v10, v3
	v_addc_co_u32_e32 v12, vcc, v13, v3, vcc
	v_mad_u64_u32 v[10:11], s[0:1], v14, s7, 0
	v_mul_hi_u32 v13, v14, s21
	v_xor_b32_e32 v15, v12, v3
	v_xor_b32_e32 v3, s20, v3
	v_add_co_u32_e32 v16, vcc, v13, v10
	v_addc_co_u32_e32 v17, vcc, 0, v11, vcc
	v_mad_u64_u32 v[10:11], s[0:1], v15, s21, 0
	v_mad_u64_u32 v[12:13], s[0:1], v15, s7, 0
	v_add_co_u32_e32 v10, vcc, v16, v10
	v_addc_co_u32_e32 v10, vcc, v17, v11, vcc
	v_addc_co_u32_e32 v11, vcc, 0, v13, vcc
	v_add_co_u32_e32 v12, vcc, v10, v12
	v_addc_co_u32_e32 v13, vcc, 0, v11, vcc
	v_mul_lo_u32 v16, s23, v12
	v_mul_lo_u32 v17, s22, v13
	v_mad_u64_u32 v[10:11], s[0:1], s22, v12, 0
	v_add3_u32 v11, v11, v17, v16
	v_sub_u32_e32 v16, v15, v11
	v_mov_b32_e32 v17, s23
	v_sub_co_u32_e32 v10, vcc, v14, v10
	v_subb_co_u32_e64 v14, s[0:1], v16, v17, vcc
	v_subrev_co_u32_e64 v16, s[0:1], s22, v10
	v_subbrev_co_u32_e64 v14, s[0:1], 0, v14, s[0:1]
	v_cmp_le_u32_e64 s[0:1], s23, v14
	v_cndmask_b32_e64 v17, 0, -1, s[0:1]
	v_cmp_le_u32_e64 s[0:1], s22, v16
	v_cndmask_b32_e64 v16, 0, -1, s[0:1]
	v_cmp_eq_u32_e64 s[0:1], s23, v14
	v_cndmask_b32_e64 v14, v17, v16, s[0:1]
	v_add_co_u32_e64 v16, s[0:1], 2, v12
	v_subb_co_u32_e32 v11, vcc, v15, v11, vcc
	v_addc_co_u32_e64 v17, s[0:1], 0, v13, s[0:1]
	v_cmp_le_u32_e32 vcc, s23, v11
	v_add_co_u32_e64 v18, s[0:1], 1, v12
	v_cndmask_b32_e64 v15, 0, -1, vcc
	v_cmp_le_u32_e32 vcc, s22, v10
	v_addc_co_u32_e64 v19, s[0:1], 0, v13, s[0:1]
	v_cndmask_b32_e64 v10, 0, -1, vcc
	v_cmp_eq_u32_e32 vcc, s23, v11
	v_cmp_ne_u32_e64 s[0:1], 0, v14
	v_cndmask_b32_e32 v10, v15, v10, vcc
	v_cndmask_b32_e64 v14, v19, v17, s[0:1]
	v_cmp_ne_u32_e32 vcc, 0, v10
	v_cndmask_b32_e64 v11, v18, v16, s[0:1]
	v_cndmask_b32_e32 v10, v13, v14, vcc
	v_cndmask_b32_e32 v11, v12, v11, vcc
	v_xor_b32_e32 v12, v10, v3
	v_xor_b32_e32 v10, v11, v3
	v_sub_co_u32_e32 v10, vcc, v10, v3
	v_subb_co_u32_e32 v11, vcc, v12, v3, vcc
                                        ; implicit-def: $vgpr12_vgpr13
.LBB18_9:                               ;   in Loop: Header=BB18_3 Depth=1
	s_andn2_saveexec_b64 s[0:1], s[10:11]
	s_cbranch_execz .LBB18_11
; %bb.10:                               ;   in Loop: Header=BB18_3 Depth=1
	v_cvt_f32_u32_e32 v3, s16
	s_sub_i32 s7, 0, s16
	v_rcp_iflag_f32_e32 v3, v3
	v_mul_f32_e32 v3, 0x4f7ffffe, v3
	v_cvt_u32_f32_e32 v3, v3
	v_mul_lo_u32 v10, s7, v3
	v_mul_hi_u32 v10, v3, v10
	v_add_u32_e32 v3, v3, v10
	v_mul_hi_u32 v3, v12, v3
	v_mul_lo_u32 v10, v3, s16
	v_add_u32_e32 v11, 1, v3
	v_sub_u32_e32 v10, v12, v10
	v_subrev_u32_e32 v12, s16, v10
	v_cmp_le_u32_e32 vcc, s16, v10
	v_cndmask_b32_e32 v10, v10, v12, vcc
	v_cndmask_b32_e32 v3, v3, v11, vcc
	v_add_u32_e32 v11, 1, v3
	v_cmp_le_u32_e32 vcc, s16, v10
	v_cndmask_b32_e32 v10, v3, v11, vcc
	v_mov_b32_e32 v11, v2
.LBB18_11:                              ;   in Loop: Header=BB18_3 Depth=1
	s_or_b64 exec, exec, s[0:1]
	v_or_b32_e32 v3, s15, v11
	v_cmp_ne_u64_e32 vcc, 0, v[2:3]
                                        ; implicit-def: $vgpr12_vgpr13
	s_and_saveexec_b64 s[0:1], vcc
	s_xor_b64 s[10:11], exec, s[0:1]
	s_cbranch_execz .LBB18_13
; %bb.12:                               ;   in Loop: Header=BB18_3 Depth=1
	s_ashr_i32 s20, s15, 31
	s_add_u32 s0, s14, s20
	s_mov_b32 s21, s20
	s_addc_u32 s1, s15, s20
	s_xor_b64 s[22:23], s[0:1], s[20:21]
	v_cvt_f32_u32_e32 v3, s22
	v_cvt_f32_u32_e32 v12, s23
	s_sub_u32 s7, 0, s22
	s_subb_u32 s21, 0, s23
	v_mac_f32_e32 v3, 0x4f800000, v12
	v_rcp_f32_e32 v3, v3
	v_mul_f32_e32 v3, 0x5f7ffffc, v3
	v_mul_f32_e32 v12, 0x2f800000, v3
	v_trunc_f32_e32 v12, v12
	v_mac_f32_e32 v3, 0xcf800000, v12
	v_cvt_u32_f32_e32 v12, v12
	v_cvt_u32_f32_e32 v3, v3
	v_readfirstlane_b32 s28, v12
	v_readfirstlane_b32 s0, v3
	s_mul_i32 s1, s7, s28
	s_mul_hi_u32 s30, s7, s0
	s_mul_i32 s29, s21, s0
	s_add_i32 s1, s30, s1
	s_add_i32 s1, s1, s29
	s_mul_i32 s31, s7, s0
	s_mul_i32 s30, s0, s1
	s_mul_hi_u32 s33, s0, s31
	s_mul_hi_u32 s29, s0, s1
	s_add_u32 s30, s33, s30
	s_addc_u32 s29, 0, s29
	s_mul_hi_u32 s34, s28, s31
	s_mul_i32 s31, s28, s31
	s_add_u32 s30, s30, s31
	s_mul_hi_u32 s33, s28, s1
	s_addc_u32 s29, s29, s34
	s_addc_u32 s30, s33, 0
	s_mul_i32 s1, s28, s1
	s_add_u32 s1, s29, s1
	s_addc_u32 s29, 0, s30
	s_add_u32 s30, s0, s1
	s_cselect_b64 s[0:1], -1, 0
	s_cmp_lg_u64 s[0:1], 0
	s_addc_u32 s28, s28, s29
	s_mul_i32 s0, s7, s28
	s_mul_hi_u32 s1, s7, s30
	s_add_i32 s0, s1, s0
	s_mul_i32 s21, s21, s30
	s_add_i32 s0, s0, s21
	s_mul_i32 s7, s7, s30
	s_mul_hi_u32 s21, s28, s7
	s_mul_i32 s29, s28, s7
	s_mul_i32 s33, s30, s0
	s_mul_hi_u32 s7, s30, s7
	s_mul_hi_u32 s31, s30, s0
	s_add_u32 s7, s7, s33
	s_addc_u32 s31, 0, s31
	s_add_u32 s7, s7, s29
	s_mul_hi_u32 s1, s28, s0
	s_addc_u32 s7, s31, s21
	s_addc_u32 s1, s1, 0
	s_mul_i32 s0, s28, s0
	s_add_u32 s0, s7, s0
	s_addc_u32 s7, 0, s1
	s_add_u32 s21, s30, s0
	s_cselect_b64 s[0:1], -1, 0
	v_ashrrev_i32_e32 v3, 31, v11
	s_cmp_lg_u64 s[0:1], 0
	v_add_co_u32_e32 v12, vcc, v10, v3
	s_addc_u32 s7, s28, s7
	v_xor_b32_e32 v15, v12, v3
	v_addc_co_u32_e32 v13, vcc, v11, v3, vcc
	v_mad_u64_u32 v[11:12], s[0:1], v15, s7, 0
	v_mul_hi_u32 v14, v15, s21
	v_xor_b32_e32 v16, v13, v3
	v_xor_b32_e32 v3, s20, v3
	v_add_co_u32_e32 v17, vcc, v14, v11
	v_addc_co_u32_e32 v18, vcc, 0, v12, vcc
	v_mad_u64_u32 v[11:12], s[0:1], v16, s21, 0
	v_mad_u64_u32 v[13:14], s[0:1], v16, s7, 0
	v_add_co_u32_e32 v11, vcc, v17, v11
	v_addc_co_u32_e32 v11, vcc, v18, v12, vcc
	v_addc_co_u32_e32 v12, vcc, 0, v14, vcc
	v_add_co_u32_e32 v13, vcc, v11, v13
	v_addc_co_u32_e32 v11, vcc, 0, v12, vcc
	v_mul_lo_u32 v14, s23, v13
	v_mul_lo_u32 v17, s22, v11
	v_mad_u64_u32 v[11:12], s[0:1], s22, v13, 0
	v_add3_u32 v12, v12, v17, v14
	v_sub_u32_e32 v14, v16, v12
	v_mov_b32_e32 v17, s23
	v_sub_co_u32_e32 v11, vcc, v15, v11
	v_subb_co_u32_e64 v14, s[0:1], v14, v17, vcc
	v_subrev_co_u32_e64 v15, s[0:1], s22, v11
	v_subbrev_co_u32_e64 v14, s[0:1], 0, v14, s[0:1]
	v_cmp_le_u32_e64 s[0:1], s23, v14
	v_subb_co_u32_e32 v12, vcc, v16, v12, vcc
	v_cndmask_b32_e64 v17, 0, -1, s[0:1]
	v_cmp_le_u32_e64 s[0:1], s22, v15
	v_cmp_le_u32_e32 vcc, s23, v12
	v_cndmask_b32_e64 v15, 0, -1, s[0:1]
	v_cmp_eq_u32_e64 s[0:1], s23, v14
	v_cndmask_b32_e64 v16, 0, -1, vcc
	v_cmp_le_u32_e32 vcc, s22, v11
	v_cndmask_b32_e64 v14, v17, v15, s[0:1]
	v_cndmask_b32_e64 v11, 0, -1, vcc
	v_cmp_eq_u32_e32 vcc, s23, v12
	v_add_co_u32_e64 v15, s[0:1], 2, v13
	v_add_co_u32_e64 v17, s[0:1], 1, v13
	v_cndmask_b32_e32 v11, v16, v11, vcc
	v_cmp_ne_u32_e32 vcc, 0, v14
	v_cndmask_b32_e32 v12, v17, v15, vcc
	v_cmp_ne_u32_e32 vcc, 0, v11
	v_cndmask_b32_e32 v11, v13, v12, vcc
	v_xor_b32_e32 v11, v11, v3
	v_sub_co_u32_e32 v12, vcc, v11, v3
.LBB18_13:                              ;   in Loop: Header=BB18_3 Depth=1
	s_andn2_saveexec_b64 s[0:1], s[10:11]
	s_cbranch_execz .LBB18_2
; %bb.14:                               ;   in Loop: Header=BB18_3 Depth=1
	v_cvt_f32_u32_e32 v3, s14
	s_sub_i32 s7, 0, s14
	v_rcp_iflag_f32_e32 v3, v3
	v_mul_f32_e32 v3, 0x4f7ffffe, v3
	v_cvt_u32_f32_e32 v3, v3
	v_mul_lo_u32 v11, s7, v3
	v_mul_hi_u32 v11, v3, v11
	v_add_u32_e32 v3, v3, v11
	v_mul_hi_u32 v3, v10, v3
	v_mul_lo_u32 v11, v3, s14
	v_add_u32_e32 v12, 1, v3
	v_sub_u32_e32 v11, v10, v11
	v_subrev_u32_e32 v13, s14, v11
	v_cmp_le_u32_e32 vcc, s14, v11
	v_cndmask_b32_e32 v11, v11, v13, vcc
	v_cndmask_b32_e32 v3, v3, v12, vcc
	v_add_u32_e32 v12, 1, v3
	v_cmp_le_u32_e32 vcc, s14, v11
	v_cndmask_b32_e32 v12, v3, v12, vcc
	s_branch .LBB18_2
.LBB18_15:
	s_endpgm
	.section	.rodata,"a",@progbits
	.p2align	6, 0x0
	.amdhsa_kernel _ZN2at6native31max_unpooling2d_backward_kernelIhEEvlPKT_PKllllllPS2_
		.amdhsa_group_segment_fixed_size 0
		.amdhsa_private_segment_fixed_size 0
		.amdhsa_kernarg_size 328
		.amdhsa_user_sgpr_count 6
		.amdhsa_user_sgpr_private_segment_buffer 1
		.amdhsa_user_sgpr_dispatch_ptr 0
		.amdhsa_user_sgpr_queue_ptr 0
		.amdhsa_user_sgpr_kernarg_segment_ptr 1
		.amdhsa_user_sgpr_dispatch_id 0
		.amdhsa_user_sgpr_flat_scratch_init 0
		.amdhsa_user_sgpr_private_segment_size 0
		.amdhsa_uses_dynamic_stack 0
		.amdhsa_system_sgpr_private_segment_wavefront_offset 0
		.amdhsa_system_sgpr_workgroup_id_x 1
		.amdhsa_system_sgpr_workgroup_id_y 0
		.amdhsa_system_sgpr_workgroup_id_z 0
		.amdhsa_system_sgpr_workgroup_info 0
		.amdhsa_system_vgpr_workitem_id 0
		.amdhsa_next_free_vgpr 20
		.amdhsa_next_free_sgpr 35
		.amdhsa_reserve_vcc 1
		.amdhsa_reserve_flat_scratch 0
		.amdhsa_float_round_mode_32 0
		.amdhsa_float_round_mode_16_64 0
		.amdhsa_float_denorm_mode_32 3
		.amdhsa_float_denorm_mode_16_64 3
		.amdhsa_dx10_clamp 1
		.amdhsa_ieee_mode 1
		.amdhsa_fp16_overflow 0
		.amdhsa_exception_fp_ieee_invalid_op 0
		.amdhsa_exception_fp_denorm_src 0
		.amdhsa_exception_fp_ieee_div_zero 0
		.amdhsa_exception_fp_ieee_overflow 0
		.amdhsa_exception_fp_ieee_underflow 0
		.amdhsa_exception_fp_ieee_inexact 0
		.amdhsa_exception_int_div_zero 0
	.end_amdhsa_kernel
	.section	.text._ZN2at6native31max_unpooling2d_backward_kernelIhEEvlPKT_PKllllllPS2_,"axG",@progbits,_ZN2at6native31max_unpooling2d_backward_kernelIhEEvlPKT_PKllllllPS2_,comdat
.Lfunc_end18:
	.size	_ZN2at6native31max_unpooling2d_backward_kernelIhEEvlPKT_PKllllllPS2_, .Lfunc_end18-_ZN2at6native31max_unpooling2d_backward_kernelIhEEvlPKT_PKllllllPS2_
                                        ; -- End function
	.set _ZN2at6native31max_unpooling2d_backward_kernelIhEEvlPKT_PKllllllPS2_.num_vgpr, 20
	.set _ZN2at6native31max_unpooling2d_backward_kernelIhEEvlPKT_PKllllllPS2_.num_agpr, 0
	.set _ZN2at6native31max_unpooling2d_backward_kernelIhEEvlPKT_PKllllllPS2_.numbered_sgpr, 35
	.set _ZN2at6native31max_unpooling2d_backward_kernelIhEEvlPKT_PKllllllPS2_.num_named_barrier, 0
	.set _ZN2at6native31max_unpooling2d_backward_kernelIhEEvlPKT_PKllllllPS2_.private_seg_size, 0
	.set _ZN2at6native31max_unpooling2d_backward_kernelIhEEvlPKT_PKllllllPS2_.uses_vcc, 1
	.set _ZN2at6native31max_unpooling2d_backward_kernelIhEEvlPKT_PKllllllPS2_.uses_flat_scratch, 0
	.set _ZN2at6native31max_unpooling2d_backward_kernelIhEEvlPKT_PKllllllPS2_.has_dyn_sized_stack, 0
	.set _ZN2at6native31max_unpooling2d_backward_kernelIhEEvlPKT_PKllllllPS2_.has_recursion, 0
	.set _ZN2at6native31max_unpooling2d_backward_kernelIhEEvlPKT_PKllllllPS2_.has_indirect_call, 0
	.section	.AMDGPU.csdata,"",@progbits
; Kernel info:
; codeLenInByte = 2532
; TotalNumSgprs: 39
; NumVgprs: 20
; ScratchSize: 0
; MemoryBound: 0
; FloatMode: 240
; IeeeMode: 1
; LDSByteSize: 0 bytes/workgroup (compile time only)
; SGPRBlocks: 4
; VGPRBlocks: 4
; NumSGPRsForWavesPerEU: 39
; NumVGPRsForWavesPerEU: 20
; Occupancy: 10
; WaveLimiterHint : 1
; COMPUTE_PGM_RSRC2:SCRATCH_EN: 0
; COMPUTE_PGM_RSRC2:USER_SGPR: 6
; COMPUTE_PGM_RSRC2:TRAP_HANDLER: 0
; COMPUTE_PGM_RSRC2:TGID_X_EN: 1
; COMPUTE_PGM_RSRC2:TGID_Y_EN: 0
; COMPUTE_PGM_RSRC2:TGID_Z_EN: 0
; COMPUTE_PGM_RSRC2:TIDIG_COMP_CNT: 0
	.section	.text._ZN2at6native31max_unpooling2d_backward_kernelIaEEvlPKT_PKllllllPS2_,"axG",@progbits,_ZN2at6native31max_unpooling2d_backward_kernelIaEEvlPKT_PKllllllPS2_,comdat
	.protected	_ZN2at6native31max_unpooling2d_backward_kernelIaEEvlPKT_PKllllllPS2_ ; -- Begin function _ZN2at6native31max_unpooling2d_backward_kernelIaEEvlPKT_PKllllllPS2_
	.globl	_ZN2at6native31max_unpooling2d_backward_kernelIaEEvlPKT_PKllllllPS2_
	.p2align	8
	.type	_ZN2at6native31max_unpooling2d_backward_kernelIaEEvlPKT_PKllllllPS2_,@function
_ZN2at6native31max_unpooling2d_backward_kernelIaEEvlPKT_PKllllllPS2_: ; @_ZN2at6native31max_unpooling2d_backward_kernelIaEEvlPKT_PKllllllPS2_
; %bb.0:
	s_load_dword s2, s[4:5], 0x54
	s_load_dwordx16 s[8:23], s[4:5], 0x0
	s_add_u32 s0, s4, 0x48
	v_mov_b32_e32 v2, 0
	s_addc_u32 s1, s5, 0
	s_waitcnt lgkmcnt(0)
	s_and_b32 s7, s2, 0xffff
	v_mov_b32_e32 v1, v2
	v_mov_b32_e32 v3, s6
	v_mad_u64_u32 v[0:1], s[2:3], s7, v3, v[0:1]
	v_cmp_gt_i64_e32 vcc, s[8:9], v[0:1]
	s_and_saveexec_b64 s[2:3], vcc
	s_cbranch_execz .LBB19_15
; %bb.1:
	s_load_dwordx2 s[2:3], s[4:5], 0x40
	s_load_dword s6, s[0:1], 0x0
	s_mul_i32 s0, s22, s21
	s_mul_hi_u32 s1, s22, s20
	v_mov_b32_e32 v3, v0
	s_add_i32 s0, s1, s0
	s_mul_i32 s1, s23, s20
	s_waitcnt lgkmcnt(0)
	s_mul_i32 s26, s6, s7
	v_mov_b32_e32 v4, s10
	v_mov_b32_e32 v7, v3
	s_add_i32 s24, s0, s1
	s_mul_i32 s25, s22, s20
	s_mov_b32 s27, s26
	s_mov_b64 s[4:5], 0
	v_mov_b32_e32 v5, s11
	s_ashr_i32 s6, s19, 31
	v_mov_b32_e32 v6, v2
	s_branch .LBB19_3
.LBB19_2:                               ;   in Loop: Header=BB19_3 Depth=1
	s_or_b64 exec, exec, s[0:1]
	v_lshlrev_b64 v[13:14], 3, v[8:9]
	v_mov_b32_e32 v3, s13
	v_add_co_u32_e32 v13, vcc, s12, v13
	v_addc_co_u32_e32 v14, vcc, v3, v14, vcc
	global_load_dword v3, v[13:14], off
	v_mul_lo_u32 v11, v12, s14
	v_ashrrev_i32_e32 v13, 31, v12
	v_mul_lo_u32 v14, v12, s15
	v_mul_lo_u32 v13, v13, s14
	v_sub_u32_e32 v10, v10, v11
	v_ashrrev_i32_e32 v11, 31, v10
	v_mad_u64_u32 v[10:11], s[0:1], v12, s14, v[10:11]
	v_add3_u32 v11, v13, v11, v14
	v_mul_lo_u32 v12, s24, v10
	v_mad_u64_u32 v[4:5], s[0:1], s25, v10, v[4:5]
	v_mul_lo_u32 v10, s25, v11
	v_add_co_u32_e64 v8, s[0:1], s2, v8
	v_add3_u32 v5, v12, v5, v10
	s_waitcnt vmcnt(0)
	v_ashrrev_i32_e32 v11, 31, v3
	v_add_co_u32_e32 v10, vcc, v4, v3
	v_addc_co_u32_e32 v11, vcc, v5, v11, vcc
	global_load_ubyte v3, v[10:11], off
	v_add_co_u32_e32 v0, vcc, s26, v0
	v_addc_co_u32_e32 v1, vcc, 0, v1, vcc
	v_cmp_le_i64_e32 vcc, s[8:9], v[0:1]
	v_mov_b32_e32 v10, s3
	v_mov_b32_e32 v11, s27
	s_or_b64 s[4:5], vcc, s[4:5]
	v_add_co_u32_e32 v6, vcc, 0, v6
	v_addc_co_u32_e64 v9, s[0:1], v10, v9, s[0:1]
	v_addc_co_u32_e32 v7, vcc, v7, v11, vcc
	s_waitcnt vmcnt(0)
	global_store_byte v[8:9], v3, off
	s_andn2_b64 exec, exec, s[4:5]
	s_cbranch_execz .LBB19_15
.LBB19_3:                               ; =>This Inner Loop Header: Depth=1
	v_ashrrev_i32_e32 v9, 31, v7
	v_or_b32_e32 v3, s19, v9
	v_cmp_ne_u64_e32 vcc, 0, v[2:3]
	v_mov_b32_e32 v8, v7
                                        ; implicit-def: $vgpr12_vgpr13
	s_and_saveexec_b64 s[0:1], vcc
	s_xor_b64 s[10:11], exec, s[0:1]
	s_cbranch_execz .LBB19_5
; %bb.4:                                ;   in Loop: Header=BB19_3 Depth=1
	s_add_u32 s0, s18, s6
	s_mov_b32 s7, s6
	s_addc_u32 s1, s19, s6
	s_xor_b64 s[20:21], s[0:1], s[6:7]
	v_cvt_f32_u32_e32 v3, s20
	v_cvt_f32_u32_e32 v10, s21
	s_sub_u32 s7, 0, s20
	s_subb_u32 s22, 0, s21
	v_mac_f32_e32 v3, 0x4f800000, v10
	v_rcp_f32_e32 v3, v3
	v_mul_f32_e32 v3, 0x5f7ffffc, v3
	v_mul_f32_e32 v10, 0x2f800000, v3
	v_trunc_f32_e32 v10, v10
	v_mac_f32_e32 v3, 0xcf800000, v10
	v_cvt_u32_f32_e32 v10, v10
	v_cvt_u32_f32_e32 v3, v3
	v_readfirstlane_b32 s23, v10
	v_readfirstlane_b32 s0, v3
	s_mul_i32 s1, s7, s23
	s_mul_hi_u32 s29, s7, s0
	s_mul_i32 s28, s22, s0
	s_add_i32 s1, s29, s1
	s_add_i32 s1, s1, s28
	s_mul_i32 s30, s7, s0
	s_mul_i32 s29, s0, s1
	s_mul_hi_u32 s31, s0, s30
	s_mul_hi_u32 s28, s0, s1
	s_add_u32 s29, s31, s29
	s_addc_u32 s28, 0, s28
	s_mul_hi_u32 s33, s23, s30
	s_mul_i32 s30, s23, s30
	s_add_u32 s29, s29, s30
	s_mul_hi_u32 s31, s23, s1
	s_addc_u32 s28, s28, s33
	s_addc_u32 s29, s31, 0
	s_mul_i32 s1, s23, s1
	s_add_u32 s1, s28, s1
	s_addc_u32 s28, 0, s29
	s_add_u32 s29, s0, s1
	s_cselect_b64 s[0:1], -1, 0
	s_cmp_lg_u64 s[0:1], 0
	s_addc_u32 s23, s23, s28
	s_mul_i32 s0, s7, s23
	s_mul_hi_u32 s1, s7, s29
	s_add_i32 s0, s1, s0
	s_mul_i32 s22, s22, s29
	s_add_i32 s0, s0, s22
	s_mul_i32 s7, s7, s29
	s_mul_hi_u32 s22, s23, s7
	s_mul_i32 s28, s23, s7
	s_mul_i32 s31, s29, s0
	s_mul_hi_u32 s7, s29, s7
	s_mul_hi_u32 s30, s29, s0
	s_add_u32 s7, s7, s31
	s_addc_u32 s30, 0, s30
	s_add_u32 s7, s7, s28
	s_mul_hi_u32 s1, s23, s0
	s_addc_u32 s7, s30, s22
	s_addc_u32 s1, s1, 0
	s_mul_i32 s0, s23, s0
	s_add_u32 s0, s7, s0
	s_addc_u32 s7, 0, s1
	s_add_u32 s22, s29, s0
	s_cselect_b64 s[0:1], -1, 0
	v_ashrrev_i32_e32 v3, 31, v9
	s_cmp_lg_u64 s[0:1], 0
	v_add_co_u32_e32 v10, vcc, v8, v3
	s_addc_u32 s7, s23, s7
	v_xor_b32_e32 v14, v10, v3
	v_mad_u64_u32 v[10:11], s[0:1], v14, s7, 0
	v_mul_hi_u32 v13, v14, s22
	v_addc_co_u32_e32 v12, vcc, v9, v3, vcc
	v_xor_b32_e32 v15, v12, v3
	v_add_co_u32_e32 v16, vcc, v13, v10
	v_addc_co_u32_e32 v17, vcc, 0, v11, vcc
	v_mad_u64_u32 v[10:11], s[0:1], v15, s22, 0
	v_mad_u64_u32 v[12:13], s[0:1], v15, s7, 0
	v_add_co_u32_e32 v10, vcc, v16, v10
	v_addc_co_u32_e32 v10, vcc, v17, v11, vcc
	v_addc_co_u32_e32 v11, vcc, 0, v13, vcc
	v_add_co_u32_e32 v12, vcc, v10, v12
	v_addc_co_u32_e32 v13, vcc, 0, v11, vcc
	v_mul_lo_u32 v16, s21, v12
	v_mul_lo_u32 v17, s20, v13
	v_mad_u64_u32 v[10:11], s[0:1], s20, v12, 0
	v_xor_b32_e32 v3, s6, v3
	v_add3_u32 v11, v11, v17, v16
	v_sub_u32_e32 v16, v15, v11
	v_mov_b32_e32 v17, s21
	v_sub_co_u32_e32 v10, vcc, v14, v10
	v_subb_co_u32_e64 v14, s[0:1], v16, v17, vcc
	v_subrev_co_u32_e64 v16, s[0:1], s20, v10
	v_subbrev_co_u32_e64 v14, s[0:1], 0, v14, s[0:1]
	v_cmp_le_u32_e64 s[0:1], s21, v14
	v_cndmask_b32_e64 v17, 0, -1, s[0:1]
	v_cmp_le_u32_e64 s[0:1], s20, v16
	v_cndmask_b32_e64 v16, 0, -1, s[0:1]
	v_cmp_eq_u32_e64 s[0:1], s21, v14
	v_cndmask_b32_e64 v14, v17, v16, s[0:1]
	v_add_co_u32_e64 v16, s[0:1], 2, v12
	v_subb_co_u32_e32 v11, vcc, v15, v11, vcc
	v_addc_co_u32_e64 v17, s[0:1], 0, v13, s[0:1]
	v_cmp_le_u32_e32 vcc, s21, v11
	v_add_co_u32_e64 v18, s[0:1], 1, v12
	v_cndmask_b32_e64 v15, 0, -1, vcc
	v_cmp_le_u32_e32 vcc, s20, v10
	v_addc_co_u32_e64 v19, s[0:1], 0, v13, s[0:1]
	v_cndmask_b32_e64 v10, 0, -1, vcc
	v_cmp_eq_u32_e32 vcc, s21, v11
	v_cmp_ne_u32_e64 s[0:1], 0, v14
	v_cndmask_b32_e32 v10, v15, v10, vcc
	v_cmp_ne_u32_e32 vcc, 0, v10
	v_cndmask_b32_e64 v11, v18, v16, s[0:1]
	v_cndmask_b32_e64 v14, v19, v17, s[0:1]
	v_cndmask_b32_e32 v11, v12, v11, vcc
	v_cndmask_b32_e32 v10, v13, v14, vcc
	v_xor_b32_e32 v11, v11, v3
	v_xor_b32_e32 v10, v10, v3
	v_sub_co_u32_e32 v12, vcc, v11, v3
	v_subb_co_u32_e32 v13, vcc, v10, v3, vcc
.LBB19_5:                               ;   in Loop: Header=BB19_3 Depth=1
	s_andn2_saveexec_b64 s[0:1], s[10:11]
	s_cbranch_execz .LBB19_7
; %bb.6:                                ;   in Loop: Header=BB19_3 Depth=1
	v_cvt_f32_u32_e32 v3, s18
	s_sub_i32 s7, 0, s18
	v_mov_b32_e32 v13, v2
	v_rcp_iflag_f32_e32 v3, v3
	v_mul_f32_e32 v3, 0x4f7ffffe, v3
	v_cvt_u32_f32_e32 v3, v3
	v_mul_lo_u32 v10, s7, v3
	v_mul_hi_u32 v10, v3, v10
	v_add_u32_e32 v3, v3, v10
	v_mul_hi_u32 v3, v7, v3
	v_mul_lo_u32 v10, v3, s18
	v_add_u32_e32 v11, 1, v3
	v_sub_u32_e32 v10, v7, v10
	v_subrev_u32_e32 v12, s18, v10
	v_cmp_le_u32_e32 vcc, s18, v10
	v_cndmask_b32_e32 v10, v10, v12, vcc
	v_cndmask_b32_e32 v3, v3, v11, vcc
	v_add_u32_e32 v11, 1, v3
	v_cmp_le_u32_e32 vcc, s18, v10
	v_cndmask_b32_e32 v12, v3, v11, vcc
.LBB19_7:                               ;   in Loop: Header=BB19_3 Depth=1
	s_or_b64 exec, exec, s[0:1]
	v_or_b32_e32 v3, s17, v13
	v_cmp_ne_u64_e32 vcc, 0, v[2:3]
                                        ; implicit-def: $vgpr10_vgpr11
	s_and_saveexec_b64 s[0:1], vcc
	s_xor_b64 s[10:11], exec, s[0:1]
	s_cbranch_execz .LBB19_9
; %bb.8:                                ;   in Loop: Header=BB19_3 Depth=1
	s_ashr_i32 s20, s17, 31
	s_add_u32 s0, s16, s20
	s_mov_b32 s21, s20
	s_addc_u32 s1, s17, s20
	s_xor_b64 s[22:23], s[0:1], s[20:21]
	v_cvt_f32_u32_e32 v3, s22
	v_cvt_f32_u32_e32 v10, s23
	s_sub_u32 s7, 0, s22
	s_subb_u32 s21, 0, s23
	v_mac_f32_e32 v3, 0x4f800000, v10
	v_rcp_f32_e32 v3, v3
	v_mul_f32_e32 v3, 0x5f7ffffc, v3
	v_mul_f32_e32 v10, 0x2f800000, v3
	v_trunc_f32_e32 v10, v10
	v_mac_f32_e32 v3, 0xcf800000, v10
	v_cvt_u32_f32_e32 v10, v10
	v_cvt_u32_f32_e32 v3, v3
	v_readfirstlane_b32 s28, v10
	v_readfirstlane_b32 s0, v3
	s_mul_i32 s1, s7, s28
	s_mul_hi_u32 s30, s7, s0
	s_mul_i32 s29, s21, s0
	s_add_i32 s1, s30, s1
	s_add_i32 s1, s1, s29
	s_mul_i32 s31, s7, s0
	s_mul_i32 s30, s0, s1
	s_mul_hi_u32 s33, s0, s31
	s_mul_hi_u32 s29, s0, s1
	s_add_u32 s30, s33, s30
	s_addc_u32 s29, 0, s29
	s_mul_hi_u32 s34, s28, s31
	s_mul_i32 s31, s28, s31
	s_add_u32 s30, s30, s31
	s_mul_hi_u32 s33, s28, s1
	s_addc_u32 s29, s29, s34
	s_addc_u32 s30, s33, 0
	s_mul_i32 s1, s28, s1
	s_add_u32 s1, s29, s1
	s_addc_u32 s29, 0, s30
	s_add_u32 s30, s0, s1
	s_cselect_b64 s[0:1], -1, 0
	s_cmp_lg_u64 s[0:1], 0
	s_addc_u32 s28, s28, s29
	s_mul_i32 s0, s7, s28
	s_mul_hi_u32 s1, s7, s30
	s_add_i32 s0, s1, s0
	s_mul_i32 s21, s21, s30
	s_add_i32 s0, s0, s21
	s_mul_i32 s7, s7, s30
	s_mul_hi_u32 s21, s28, s7
	s_mul_i32 s29, s28, s7
	s_mul_i32 s33, s30, s0
	s_mul_hi_u32 s7, s30, s7
	s_mul_hi_u32 s31, s30, s0
	s_add_u32 s7, s7, s33
	s_addc_u32 s31, 0, s31
	s_add_u32 s7, s7, s29
	s_mul_hi_u32 s1, s28, s0
	s_addc_u32 s7, s31, s21
	s_addc_u32 s1, s1, 0
	s_mul_i32 s0, s28, s0
	s_add_u32 s0, s7, s0
	s_addc_u32 s7, 0, s1
	s_add_u32 s21, s30, s0
	s_cselect_b64 s[0:1], -1, 0
	v_ashrrev_i32_e32 v3, 31, v13
	s_cmp_lg_u64 s[0:1], 0
	v_add_co_u32_e32 v10, vcc, v12, v3
	s_addc_u32 s7, s28, s7
	v_xor_b32_e32 v14, v10, v3
	v_addc_co_u32_e32 v12, vcc, v13, v3, vcc
	v_mad_u64_u32 v[10:11], s[0:1], v14, s7, 0
	v_mul_hi_u32 v13, v14, s21
	v_xor_b32_e32 v15, v12, v3
	v_xor_b32_e32 v3, s20, v3
	v_add_co_u32_e32 v16, vcc, v13, v10
	v_addc_co_u32_e32 v17, vcc, 0, v11, vcc
	v_mad_u64_u32 v[10:11], s[0:1], v15, s21, 0
	v_mad_u64_u32 v[12:13], s[0:1], v15, s7, 0
	v_add_co_u32_e32 v10, vcc, v16, v10
	v_addc_co_u32_e32 v10, vcc, v17, v11, vcc
	v_addc_co_u32_e32 v11, vcc, 0, v13, vcc
	v_add_co_u32_e32 v12, vcc, v10, v12
	v_addc_co_u32_e32 v13, vcc, 0, v11, vcc
	v_mul_lo_u32 v16, s23, v12
	v_mul_lo_u32 v17, s22, v13
	v_mad_u64_u32 v[10:11], s[0:1], s22, v12, 0
	v_add3_u32 v11, v11, v17, v16
	v_sub_u32_e32 v16, v15, v11
	v_mov_b32_e32 v17, s23
	v_sub_co_u32_e32 v10, vcc, v14, v10
	v_subb_co_u32_e64 v14, s[0:1], v16, v17, vcc
	v_subrev_co_u32_e64 v16, s[0:1], s22, v10
	v_subbrev_co_u32_e64 v14, s[0:1], 0, v14, s[0:1]
	v_cmp_le_u32_e64 s[0:1], s23, v14
	v_cndmask_b32_e64 v17, 0, -1, s[0:1]
	v_cmp_le_u32_e64 s[0:1], s22, v16
	v_cndmask_b32_e64 v16, 0, -1, s[0:1]
	v_cmp_eq_u32_e64 s[0:1], s23, v14
	v_cndmask_b32_e64 v14, v17, v16, s[0:1]
	v_add_co_u32_e64 v16, s[0:1], 2, v12
	v_subb_co_u32_e32 v11, vcc, v15, v11, vcc
	v_addc_co_u32_e64 v17, s[0:1], 0, v13, s[0:1]
	v_cmp_le_u32_e32 vcc, s23, v11
	v_add_co_u32_e64 v18, s[0:1], 1, v12
	v_cndmask_b32_e64 v15, 0, -1, vcc
	v_cmp_le_u32_e32 vcc, s22, v10
	v_addc_co_u32_e64 v19, s[0:1], 0, v13, s[0:1]
	v_cndmask_b32_e64 v10, 0, -1, vcc
	v_cmp_eq_u32_e32 vcc, s23, v11
	v_cmp_ne_u32_e64 s[0:1], 0, v14
	v_cndmask_b32_e32 v10, v15, v10, vcc
	v_cndmask_b32_e64 v14, v19, v17, s[0:1]
	v_cmp_ne_u32_e32 vcc, 0, v10
	v_cndmask_b32_e64 v11, v18, v16, s[0:1]
	v_cndmask_b32_e32 v10, v13, v14, vcc
	v_cndmask_b32_e32 v11, v12, v11, vcc
	v_xor_b32_e32 v12, v10, v3
	v_xor_b32_e32 v10, v11, v3
	v_sub_co_u32_e32 v10, vcc, v10, v3
	v_subb_co_u32_e32 v11, vcc, v12, v3, vcc
                                        ; implicit-def: $vgpr12_vgpr13
.LBB19_9:                               ;   in Loop: Header=BB19_3 Depth=1
	s_andn2_saveexec_b64 s[0:1], s[10:11]
	s_cbranch_execz .LBB19_11
; %bb.10:                               ;   in Loop: Header=BB19_3 Depth=1
	v_cvt_f32_u32_e32 v3, s16
	s_sub_i32 s7, 0, s16
	v_rcp_iflag_f32_e32 v3, v3
	v_mul_f32_e32 v3, 0x4f7ffffe, v3
	v_cvt_u32_f32_e32 v3, v3
	v_mul_lo_u32 v10, s7, v3
	v_mul_hi_u32 v10, v3, v10
	v_add_u32_e32 v3, v3, v10
	v_mul_hi_u32 v3, v12, v3
	v_mul_lo_u32 v10, v3, s16
	v_add_u32_e32 v11, 1, v3
	v_sub_u32_e32 v10, v12, v10
	v_subrev_u32_e32 v12, s16, v10
	v_cmp_le_u32_e32 vcc, s16, v10
	v_cndmask_b32_e32 v10, v10, v12, vcc
	v_cndmask_b32_e32 v3, v3, v11, vcc
	v_add_u32_e32 v11, 1, v3
	v_cmp_le_u32_e32 vcc, s16, v10
	v_cndmask_b32_e32 v10, v3, v11, vcc
	v_mov_b32_e32 v11, v2
.LBB19_11:                              ;   in Loop: Header=BB19_3 Depth=1
	s_or_b64 exec, exec, s[0:1]
	v_or_b32_e32 v3, s15, v11
	v_cmp_ne_u64_e32 vcc, 0, v[2:3]
                                        ; implicit-def: $vgpr12_vgpr13
	s_and_saveexec_b64 s[0:1], vcc
	s_xor_b64 s[10:11], exec, s[0:1]
	s_cbranch_execz .LBB19_13
; %bb.12:                               ;   in Loop: Header=BB19_3 Depth=1
	s_ashr_i32 s20, s15, 31
	s_add_u32 s0, s14, s20
	s_mov_b32 s21, s20
	s_addc_u32 s1, s15, s20
	s_xor_b64 s[22:23], s[0:1], s[20:21]
	v_cvt_f32_u32_e32 v3, s22
	v_cvt_f32_u32_e32 v12, s23
	s_sub_u32 s7, 0, s22
	s_subb_u32 s21, 0, s23
	v_mac_f32_e32 v3, 0x4f800000, v12
	v_rcp_f32_e32 v3, v3
	v_mul_f32_e32 v3, 0x5f7ffffc, v3
	v_mul_f32_e32 v12, 0x2f800000, v3
	v_trunc_f32_e32 v12, v12
	v_mac_f32_e32 v3, 0xcf800000, v12
	v_cvt_u32_f32_e32 v12, v12
	v_cvt_u32_f32_e32 v3, v3
	v_readfirstlane_b32 s28, v12
	v_readfirstlane_b32 s0, v3
	s_mul_i32 s1, s7, s28
	s_mul_hi_u32 s30, s7, s0
	s_mul_i32 s29, s21, s0
	s_add_i32 s1, s30, s1
	s_add_i32 s1, s1, s29
	s_mul_i32 s31, s7, s0
	s_mul_i32 s30, s0, s1
	s_mul_hi_u32 s33, s0, s31
	s_mul_hi_u32 s29, s0, s1
	s_add_u32 s30, s33, s30
	s_addc_u32 s29, 0, s29
	s_mul_hi_u32 s34, s28, s31
	s_mul_i32 s31, s28, s31
	s_add_u32 s30, s30, s31
	s_mul_hi_u32 s33, s28, s1
	s_addc_u32 s29, s29, s34
	s_addc_u32 s30, s33, 0
	s_mul_i32 s1, s28, s1
	s_add_u32 s1, s29, s1
	s_addc_u32 s29, 0, s30
	s_add_u32 s30, s0, s1
	s_cselect_b64 s[0:1], -1, 0
	s_cmp_lg_u64 s[0:1], 0
	s_addc_u32 s28, s28, s29
	s_mul_i32 s0, s7, s28
	s_mul_hi_u32 s1, s7, s30
	s_add_i32 s0, s1, s0
	s_mul_i32 s21, s21, s30
	s_add_i32 s0, s0, s21
	s_mul_i32 s7, s7, s30
	s_mul_hi_u32 s21, s28, s7
	s_mul_i32 s29, s28, s7
	s_mul_i32 s33, s30, s0
	s_mul_hi_u32 s7, s30, s7
	s_mul_hi_u32 s31, s30, s0
	s_add_u32 s7, s7, s33
	s_addc_u32 s31, 0, s31
	s_add_u32 s7, s7, s29
	s_mul_hi_u32 s1, s28, s0
	s_addc_u32 s7, s31, s21
	s_addc_u32 s1, s1, 0
	s_mul_i32 s0, s28, s0
	s_add_u32 s0, s7, s0
	s_addc_u32 s7, 0, s1
	s_add_u32 s21, s30, s0
	s_cselect_b64 s[0:1], -1, 0
	v_ashrrev_i32_e32 v3, 31, v11
	s_cmp_lg_u64 s[0:1], 0
	v_add_co_u32_e32 v12, vcc, v10, v3
	s_addc_u32 s7, s28, s7
	v_xor_b32_e32 v15, v12, v3
	v_addc_co_u32_e32 v13, vcc, v11, v3, vcc
	v_mad_u64_u32 v[11:12], s[0:1], v15, s7, 0
	v_mul_hi_u32 v14, v15, s21
	v_xor_b32_e32 v16, v13, v3
	v_xor_b32_e32 v3, s20, v3
	v_add_co_u32_e32 v17, vcc, v14, v11
	v_addc_co_u32_e32 v18, vcc, 0, v12, vcc
	v_mad_u64_u32 v[11:12], s[0:1], v16, s21, 0
	v_mad_u64_u32 v[13:14], s[0:1], v16, s7, 0
	v_add_co_u32_e32 v11, vcc, v17, v11
	v_addc_co_u32_e32 v11, vcc, v18, v12, vcc
	v_addc_co_u32_e32 v12, vcc, 0, v14, vcc
	v_add_co_u32_e32 v13, vcc, v11, v13
	v_addc_co_u32_e32 v11, vcc, 0, v12, vcc
	v_mul_lo_u32 v14, s23, v13
	v_mul_lo_u32 v17, s22, v11
	v_mad_u64_u32 v[11:12], s[0:1], s22, v13, 0
	v_add3_u32 v12, v12, v17, v14
	v_sub_u32_e32 v14, v16, v12
	v_mov_b32_e32 v17, s23
	v_sub_co_u32_e32 v11, vcc, v15, v11
	v_subb_co_u32_e64 v14, s[0:1], v14, v17, vcc
	v_subrev_co_u32_e64 v15, s[0:1], s22, v11
	v_subbrev_co_u32_e64 v14, s[0:1], 0, v14, s[0:1]
	v_cmp_le_u32_e64 s[0:1], s23, v14
	v_subb_co_u32_e32 v12, vcc, v16, v12, vcc
	v_cndmask_b32_e64 v17, 0, -1, s[0:1]
	v_cmp_le_u32_e64 s[0:1], s22, v15
	v_cmp_le_u32_e32 vcc, s23, v12
	v_cndmask_b32_e64 v15, 0, -1, s[0:1]
	v_cmp_eq_u32_e64 s[0:1], s23, v14
	v_cndmask_b32_e64 v16, 0, -1, vcc
	v_cmp_le_u32_e32 vcc, s22, v11
	v_cndmask_b32_e64 v14, v17, v15, s[0:1]
	v_cndmask_b32_e64 v11, 0, -1, vcc
	v_cmp_eq_u32_e32 vcc, s23, v12
	v_add_co_u32_e64 v15, s[0:1], 2, v13
	v_add_co_u32_e64 v17, s[0:1], 1, v13
	v_cndmask_b32_e32 v11, v16, v11, vcc
	v_cmp_ne_u32_e32 vcc, 0, v14
	v_cndmask_b32_e32 v12, v17, v15, vcc
	v_cmp_ne_u32_e32 vcc, 0, v11
	v_cndmask_b32_e32 v11, v13, v12, vcc
	v_xor_b32_e32 v11, v11, v3
	v_sub_co_u32_e32 v12, vcc, v11, v3
.LBB19_13:                              ;   in Loop: Header=BB19_3 Depth=1
	s_andn2_saveexec_b64 s[0:1], s[10:11]
	s_cbranch_execz .LBB19_2
; %bb.14:                               ;   in Loop: Header=BB19_3 Depth=1
	v_cvt_f32_u32_e32 v3, s14
	s_sub_i32 s7, 0, s14
	v_rcp_iflag_f32_e32 v3, v3
	v_mul_f32_e32 v3, 0x4f7ffffe, v3
	v_cvt_u32_f32_e32 v3, v3
	v_mul_lo_u32 v11, s7, v3
	v_mul_hi_u32 v11, v3, v11
	v_add_u32_e32 v3, v3, v11
	v_mul_hi_u32 v3, v10, v3
	v_mul_lo_u32 v11, v3, s14
	v_add_u32_e32 v12, 1, v3
	v_sub_u32_e32 v11, v10, v11
	v_subrev_u32_e32 v13, s14, v11
	v_cmp_le_u32_e32 vcc, s14, v11
	v_cndmask_b32_e32 v11, v11, v13, vcc
	v_cndmask_b32_e32 v3, v3, v12, vcc
	v_add_u32_e32 v12, 1, v3
	v_cmp_le_u32_e32 vcc, s14, v11
	v_cndmask_b32_e32 v12, v3, v12, vcc
	s_branch .LBB19_2
.LBB19_15:
	s_endpgm
	.section	.rodata,"a",@progbits
	.p2align	6, 0x0
	.amdhsa_kernel _ZN2at6native31max_unpooling2d_backward_kernelIaEEvlPKT_PKllllllPS2_
		.amdhsa_group_segment_fixed_size 0
		.amdhsa_private_segment_fixed_size 0
		.amdhsa_kernarg_size 328
		.amdhsa_user_sgpr_count 6
		.amdhsa_user_sgpr_private_segment_buffer 1
		.amdhsa_user_sgpr_dispatch_ptr 0
		.amdhsa_user_sgpr_queue_ptr 0
		.amdhsa_user_sgpr_kernarg_segment_ptr 1
		.amdhsa_user_sgpr_dispatch_id 0
		.amdhsa_user_sgpr_flat_scratch_init 0
		.amdhsa_user_sgpr_private_segment_size 0
		.amdhsa_uses_dynamic_stack 0
		.amdhsa_system_sgpr_private_segment_wavefront_offset 0
		.amdhsa_system_sgpr_workgroup_id_x 1
		.amdhsa_system_sgpr_workgroup_id_y 0
		.amdhsa_system_sgpr_workgroup_id_z 0
		.amdhsa_system_sgpr_workgroup_info 0
		.amdhsa_system_vgpr_workitem_id 0
		.amdhsa_next_free_vgpr 20
		.amdhsa_next_free_sgpr 35
		.amdhsa_reserve_vcc 1
		.amdhsa_reserve_flat_scratch 0
		.amdhsa_float_round_mode_32 0
		.amdhsa_float_round_mode_16_64 0
		.amdhsa_float_denorm_mode_32 3
		.amdhsa_float_denorm_mode_16_64 3
		.amdhsa_dx10_clamp 1
		.amdhsa_ieee_mode 1
		.amdhsa_fp16_overflow 0
		.amdhsa_exception_fp_ieee_invalid_op 0
		.amdhsa_exception_fp_denorm_src 0
		.amdhsa_exception_fp_ieee_div_zero 0
		.amdhsa_exception_fp_ieee_overflow 0
		.amdhsa_exception_fp_ieee_underflow 0
		.amdhsa_exception_fp_ieee_inexact 0
		.amdhsa_exception_int_div_zero 0
	.end_amdhsa_kernel
	.section	.text._ZN2at6native31max_unpooling2d_backward_kernelIaEEvlPKT_PKllllllPS2_,"axG",@progbits,_ZN2at6native31max_unpooling2d_backward_kernelIaEEvlPKT_PKllllllPS2_,comdat
.Lfunc_end19:
	.size	_ZN2at6native31max_unpooling2d_backward_kernelIaEEvlPKT_PKllllllPS2_, .Lfunc_end19-_ZN2at6native31max_unpooling2d_backward_kernelIaEEvlPKT_PKllllllPS2_
                                        ; -- End function
	.set _ZN2at6native31max_unpooling2d_backward_kernelIaEEvlPKT_PKllllllPS2_.num_vgpr, 20
	.set _ZN2at6native31max_unpooling2d_backward_kernelIaEEvlPKT_PKllllllPS2_.num_agpr, 0
	.set _ZN2at6native31max_unpooling2d_backward_kernelIaEEvlPKT_PKllllllPS2_.numbered_sgpr, 35
	.set _ZN2at6native31max_unpooling2d_backward_kernelIaEEvlPKT_PKllllllPS2_.num_named_barrier, 0
	.set _ZN2at6native31max_unpooling2d_backward_kernelIaEEvlPKT_PKllllllPS2_.private_seg_size, 0
	.set _ZN2at6native31max_unpooling2d_backward_kernelIaEEvlPKT_PKllllllPS2_.uses_vcc, 1
	.set _ZN2at6native31max_unpooling2d_backward_kernelIaEEvlPKT_PKllllllPS2_.uses_flat_scratch, 0
	.set _ZN2at6native31max_unpooling2d_backward_kernelIaEEvlPKT_PKllllllPS2_.has_dyn_sized_stack, 0
	.set _ZN2at6native31max_unpooling2d_backward_kernelIaEEvlPKT_PKllllllPS2_.has_recursion, 0
	.set _ZN2at6native31max_unpooling2d_backward_kernelIaEEvlPKT_PKllllllPS2_.has_indirect_call, 0
	.section	.AMDGPU.csdata,"",@progbits
; Kernel info:
; codeLenInByte = 2532
; TotalNumSgprs: 39
; NumVgprs: 20
; ScratchSize: 0
; MemoryBound: 0
; FloatMode: 240
; IeeeMode: 1
; LDSByteSize: 0 bytes/workgroup (compile time only)
; SGPRBlocks: 4
; VGPRBlocks: 4
; NumSGPRsForWavesPerEU: 39
; NumVGPRsForWavesPerEU: 20
; Occupancy: 10
; WaveLimiterHint : 1
; COMPUTE_PGM_RSRC2:SCRATCH_EN: 0
; COMPUTE_PGM_RSRC2:USER_SGPR: 6
; COMPUTE_PGM_RSRC2:TRAP_HANDLER: 0
; COMPUTE_PGM_RSRC2:TGID_X_EN: 1
; COMPUTE_PGM_RSRC2:TGID_Y_EN: 0
; COMPUTE_PGM_RSRC2:TGID_Z_EN: 0
; COMPUTE_PGM_RSRC2:TIDIG_COMP_CNT: 0
	.section	.text._ZN2at6native31max_unpooling2d_backward_kernelIiEEvlPKT_PKllllllPS2_,"axG",@progbits,_ZN2at6native31max_unpooling2d_backward_kernelIiEEvlPKT_PKllllllPS2_,comdat
	.protected	_ZN2at6native31max_unpooling2d_backward_kernelIiEEvlPKT_PKllllllPS2_ ; -- Begin function _ZN2at6native31max_unpooling2d_backward_kernelIiEEvlPKT_PKllllllPS2_
	.globl	_ZN2at6native31max_unpooling2d_backward_kernelIiEEvlPKT_PKllllllPS2_
	.p2align	8
	.type	_ZN2at6native31max_unpooling2d_backward_kernelIiEEvlPKT_PKllllllPS2_,@function
_ZN2at6native31max_unpooling2d_backward_kernelIiEEvlPKT_PKllllllPS2_: ; @_ZN2at6native31max_unpooling2d_backward_kernelIiEEvlPKT_PKllllllPS2_
; %bb.0:
	s_load_dword s2, s[4:5], 0x54
	s_load_dwordx16 s[8:23], s[4:5], 0x0
	s_add_u32 s0, s4, 0x48
	v_mov_b32_e32 v2, 0
	s_addc_u32 s1, s5, 0
	s_waitcnt lgkmcnt(0)
	s_and_b32 s7, s2, 0xffff
	v_mov_b32_e32 v1, v2
	v_mov_b32_e32 v3, s6
	v_mad_u64_u32 v[0:1], s[2:3], s7, v3, v[0:1]
	v_cmp_gt_i64_e32 vcc, s[8:9], v[0:1]
	s_and_saveexec_b64 s[2:3], vcc
	s_cbranch_execz .LBB20_15
; %bb.1:
	s_load_dwordx2 s[2:3], s[4:5], 0x40
	s_load_dword s6, s[0:1], 0x0
	s_mul_i32 s0, s22, s21
	s_mul_hi_u32 s1, s22, s20
	v_mov_b32_e32 v3, v0
	s_add_i32 s0, s1, s0
	s_mul_i32 s1, s23, s20
	s_waitcnt lgkmcnt(0)
	s_mul_i32 s26, s6, s7
	v_mov_b32_e32 v4, s10
	v_mov_b32_e32 v7, v3
	s_add_i32 s24, s0, s1
	s_mul_i32 s25, s22, s20
	s_mov_b32 s27, s26
	s_mov_b64 s[4:5], 0
	v_mov_b32_e32 v5, s11
	s_ashr_i32 s6, s19, 31
	v_mov_b32_e32 v6, v2
	s_branch .LBB20_3
.LBB20_2:                               ;   in Loop: Header=BB20_3 Depth=1
	s_or_b64 exec, exec, s[0:1]
	v_lshlrev_b64 v[13:14], 3, v[8:9]
	v_mov_b32_e32 v3, s13
	v_add_co_u32_e32 v13, vcc, s12, v13
	v_addc_co_u32_e32 v14, vcc, v3, v14, vcc
	global_load_dword v3, v[13:14], off
	v_mul_lo_u32 v11, v12, s14
	v_ashrrev_i32_e32 v13, 31, v12
	v_mul_lo_u32 v14, v12, s15
	v_mul_lo_u32 v13, v13, s14
	v_sub_u32_e32 v10, v10, v11
	v_ashrrev_i32_e32 v11, 31, v10
	v_mad_u64_u32 v[10:11], s[0:1], v12, s14, v[10:11]
	v_lshlrev_b64 v[8:9], 2, v[8:9]
	v_add3_u32 v12, v13, v11, v14
	v_mul_lo_u32 v13, s24, v10
	v_mad_u64_u32 v[10:11], s[0:1], s25, v10, 0
	v_mul_lo_u32 v12, s25, v12
	v_add_co_u32_e64 v8, s[0:1], s2, v8
	v_add3_u32 v11, v11, v12, v13
	v_lshlrev_b64 v[10:11], 2, v[10:11]
	v_add_co_u32_e32 v4, vcc, v4, v10
	v_addc_co_u32_e32 v5, vcc, v5, v11, vcc
	s_waitcnt vmcnt(0)
	v_ashrrev_i64 v[10:11], 30, v[2:3]
	v_add_co_u32_e32 v10, vcc, v4, v10
	v_addc_co_u32_e32 v11, vcc, v5, v11, vcc
	global_load_dword v3, v[10:11], off
	v_add_co_u32_e32 v0, vcc, s26, v0
	v_addc_co_u32_e32 v1, vcc, 0, v1, vcc
	v_cmp_le_i64_e32 vcc, s[8:9], v[0:1]
	v_mov_b32_e32 v10, s3
	v_mov_b32_e32 v11, s27
	s_or_b64 s[4:5], vcc, s[4:5]
	v_add_co_u32_e32 v6, vcc, 0, v6
	v_addc_co_u32_e64 v9, s[0:1], v10, v9, s[0:1]
	v_addc_co_u32_e32 v7, vcc, v7, v11, vcc
	s_waitcnt vmcnt(0)
	global_store_dword v[8:9], v3, off
	s_andn2_b64 exec, exec, s[4:5]
	s_cbranch_execz .LBB20_15
.LBB20_3:                               ; =>This Inner Loop Header: Depth=1
	v_ashrrev_i32_e32 v9, 31, v7
	v_or_b32_e32 v3, s19, v9
	v_cmp_ne_u64_e32 vcc, 0, v[2:3]
	v_mov_b32_e32 v8, v7
                                        ; implicit-def: $vgpr12_vgpr13
	s_and_saveexec_b64 s[0:1], vcc
	s_xor_b64 s[10:11], exec, s[0:1]
	s_cbranch_execz .LBB20_5
; %bb.4:                                ;   in Loop: Header=BB20_3 Depth=1
	s_add_u32 s0, s18, s6
	s_mov_b32 s7, s6
	s_addc_u32 s1, s19, s6
	s_xor_b64 s[20:21], s[0:1], s[6:7]
	v_cvt_f32_u32_e32 v3, s20
	v_cvt_f32_u32_e32 v10, s21
	s_sub_u32 s7, 0, s20
	s_subb_u32 s22, 0, s21
	v_mac_f32_e32 v3, 0x4f800000, v10
	v_rcp_f32_e32 v3, v3
	v_mul_f32_e32 v3, 0x5f7ffffc, v3
	v_mul_f32_e32 v10, 0x2f800000, v3
	v_trunc_f32_e32 v10, v10
	v_mac_f32_e32 v3, 0xcf800000, v10
	v_cvt_u32_f32_e32 v10, v10
	v_cvt_u32_f32_e32 v3, v3
	v_readfirstlane_b32 s23, v10
	v_readfirstlane_b32 s0, v3
	s_mul_i32 s1, s7, s23
	s_mul_hi_u32 s29, s7, s0
	s_mul_i32 s28, s22, s0
	s_add_i32 s1, s29, s1
	s_add_i32 s1, s1, s28
	s_mul_i32 s30, s7, s0
	s_mul_i32 s29, s0, s1
	s_mul_hi_u32 s31, s0, s30
	s_mul_hi_u32 s28, s0, s1
	s_add_u32 s29, s31, s29
	s_addc_u32 s28, 0, s28
	s_mul_hi_u32 s33, s23, s30
	s_mul_i32 s30, s23, s30
	s_add_u32 s29, s29, s30
	s_mul_hi_u32 s31, s23, s1
	s_addc_u32 s28, s28, s33
	s_addc_u32 s29, s31, 0
	s_mul_i32 s1, s23, s1
	s_add_u32 s1, s28, s1
	s_addc_u32 s28, 0, s29
	s_add_u32 s29, s0, s1
	s_cselect_b64 s[0:1], -1, 0
	s_cmp_lg_u64 s[0:1], 0
	s_addc_u32 s23, s23, s28
	s_mul_i32 s0, s7, s23
	s_mul_hi_u32 s1, s7, s29
	s_add_i32 s0, s1, s0
	s_mul_i32 s22, s22, s29
	s_add_i32 s0, s0, s22
	s_mul_i32 s7, s7, s29
	s_mul_hi_u32 s22, s23, s7
	s_mul_i32 s28, s23, s7
	s_mul_i32 s31, s29, s0
	s_mul_hi_u32 s7, s29, s7
	s_mul_hi_u32 s30, s29, s0
	s_add_u32 s7, s7, s31
	s_addc_u32 s30, 0, s30
	s_add_u32 s7, s7, s28
	s_mul_hi_u32 s1, s23, s0
	s_addc_u32 s7, s30, s22
	s_addc_u32 s1, s1, 0
	s_mul_i32 s0, s23, s0
	s_add_u32 s0, s7, s0
	s_addc_u32 s7, 0, s1
	s_add_u32 s22, s29, s0
	s_cselect_b64 s[0:1], -1, 0
	v_ashrrev_i32_e32 v3, 31, v9
	s_cmp_lg_u64 s[0:1], 0
	v_add_co_u32_e32 v10, vcc, v8, v3
	s_addc_u32 s7, s23, s7
	v_xor_b32_e32 v14, v10, v3
	v_mad_u64_u32 v[10:11], s[0:1], v14, s7, 0
	v_mul_hi_u32 v13, v14, s22
	v_addc_co_u32_e32 v12, vcc, v9, v3, vcc
	v_xor_b32_e32 v15, v12, v3
	v_add_co_u32_e32 v16, vcc, v13, v10
	v_addc_co_u32_e32 v17, vcc, 0, v11, vcc
	v_mad_u64_u32 v[10:11], s[0:1], v15, s22, 0
	v_mad_u64_u32 v[12:13], s[0:1], v15, s7, 0
	v_add_co_u32_e32 v10, vcc, v16, v10
	v_addc_co_u32_e32 v10, vcc, v17, v11, vcc
	v_addc_co_u32_e32 v11, vcc, 0, v13, vcc
	v_add_co_u32_e32 v12, vcc, v10, v12
	v_addc_co_u32_e32 v13, vcc, 0, v11, vcc
	v_mul_lo_u32 v16, s21, v12
	v_mul_lo_u32 v17, s20, v13
	v_mad_u64_u32 v[10:11], s[0:1], s20, v12, 0
	v_xor_b32_e32 v3, s6, v3
	v_add3_u32 v11, v11, v17, v16
	v_sub_u32_e32 v16, v15, v11
	v_mov_b32_e32 v17, s21
	v_sub_co_u32_e32 v10, vcc, v14, v10
	v_subb_co_u32_e64 v14, s[0:1], v16, v17, vcc
	v_subrev_co_u32_e64 v16, s[0:1], s20, v10
	v_subbrev_co_u32_e64 v14, s[0:1], 0, v14, s[0:1]
	v_cmp_le_u32_e64 s[0:1], s21, v14
	v_cndmask_b32_e64 v17, 0, -1, s[0:1]
	v_cmp_le_u32_e64 s[0:1], s20, v16
	v_cndmask_b32_e64 v16, 0, -1, s[0:1]
	v_cmp_eq_u32_e64 s[0:1], s21, v14
	v_cndmask_b32_e64 v14, v17, v16, s[0:1]
	v_add_co_u32_e64 v16, s[0:1], 2, v12
	v_subb_co_u32_e32 v11, vcc, v15, v11, vcc
	v_addc_co_u32_e64 v17, s[0:1], 0, v13, s[0:1]
	v_cmp_le_u32_e32 vcc, s21, v11
	v_add_co_u32_e64 v18, s[0:1], 1, v12
	v_cndmask_b32_e64 v15, 0, -1, vcc
	v_cmp_le_u32_e32 vcc, s20, v10
	v_addc_co_u32_e64 v19, s[0:1], 0, v13, s[0:1]
	v_cndmask_b32_e64 v10, 0, -1, vcc
	v_cmp_eq_u32_e32 vcc, s21, v11
	v_cmp_ne_u32_e64 s[0:1], 0, v14
	v_cndmask_b32_e32 v10, v15, v10, vcc
	v_cmp_ne_u32_e32 vcc, 0, v10
	v_cndmask_b32_e64 v11, v18, v16, s[0:1]
	v_cndmask_b32_e64 v14, v19, v17, s[0:1]
	v_cndmask_b32_e32 v11, v12, v11, vcc
	v_cndmask_b32_e32 v10, v13, v14, vcc
	v_xor_b32_e32 v11, v11, v3
	v_xor_b32_e32 v10, v10, v3
	v_sub_co_u32_e32 v12, vcc, v11, v3
	v_subb_co_u32_e32 v13, vcc, v10, v3, vcc
.LBB20_5:                               ;   in Loop: Header=BB20_3 Depth=1
	s_andn2_saveexec_b64 s[0:1], s[10:11]
	s_cbranch_execz .LBB20_7
; %bb.6:                                ;   in Loop: Header=BB20_3 Depth=1
	v_cvt_f32_u32_e32 v3, s18
	s_sub_i32 s7, 0, s18
	v_mov_b32_e32 v13, v2
	v_rcp_iflag_f32_e32 v3, v3
	v_mul_f32_e32 v3, 0x4f7ffffe, v3
	v_cvt_u32_f32_e32 v3, v3
	v_mul_lo_u32 v10, s7, v3
	v_mul_hi_u32 v10, v3, v10
	v_add_u32_e32 v3, v3, v10
	v_mul_hi_u32 v3, v7, v3
	v_mul_lo_u32 v10, v3, s18
	v_add_u32_e32 v11, 1, v3
	v_sub_u32_e32 v10, v7, v10
	v_subrev_u32_e32 v12, s18, v10
	v_cmp_le_u32_e32 vcc, s18, v10
	v_cndmask_b32_e32 v10, v10, v12, vcc
	v_cndmask_b32_e32 v3, v3, v11, vcc
	v_add_u32_e32 v11, 1, v3
	v_cmp_le_u32_e32 vcc, s18, v10
	v_cndmask_b32_e32 v12, v3, v11, vcc
.LBB20_7:                               ;   in Loop: Header=BB20_3 Depth=1
	s_or_b64 exec, exec, s[0:1]
	v_or_b32_e32 v3, s17, v13
	v_cmp_ne_u64_e32 vcc, 0, v[2:3]
                                        ; implicit-def: $vgpr10_vgpr11
	s_and_saveexec_b64 s[0:1], vcc
	s_xor_b64 s[10:11], exec, s[0:1]
	s_cbranch_execz .LBB20_9
; %bb.8:                                ;   in Loop: Header=BB20_3 Depth=1
	s_ashr_i32 s20, s17, 31
	s_add_u32 s0, s16, s20
	s_mov_b32 s21, s20
	s_addc_u32 s1, s17, s20
	s_xor_b64 s[22:23], s[0:1], s[20:21]
	v_cvt_f32_u32_e32 v3, s22
	v_cvt_f32_u32_e32 v10, s23
	s_sub_u32 s7, 0, s22
	s_subb_u32 s21, 0, s23
	v_mac_f32_e32 v3, 0x4f800000, v10
	v_rcp_f32_e32 v3, v3
	v_mul_f32_e32 v3, 0x5f7ffffc, v3
	v_mul_f32_e32 v10, 0x2f800000, v3
	v_trunc_f32_e32 v10, v10
	v_mac_f32_e32 v3, 0xcf800000, v10
	v_cvt_u32_f32_e32 v10, v10
	v_cvt_u32_f32_e32 v3, v3
	v_readfirstlane_b32 s28, v10
	v_readfirstlane_b32 s0, v3
	s_mul_i32 s1, s7, s28
	s_mul_hi_u32 s30, s7, s0
	s_mul_i32 s29, s21, s0
	s_add_i32 s1, s30, s1
	s_add_i32 s1, s1, s29
	s_mul_i32 s31, s7, s0
	s_mul_i32 s30, s0, s1
	s_mul_hi_u32 s33, s0, s31
	s_mul_hi_u32 s29, s0, s1
	s_add_u32 s30, s33, s30
	s_addc_u32 s29, 0, s29
	s_mul_hi_u32 s34, s28, s31
	s_mul_i32 s31, s28, s31
	s_add_u32 s30, s30, s31
	s_mul_hi_u32 s33, s28, s1
	s_addc_u32 s29, s29, s34
	s_addc_u32 s30, s33, 0
	s_mul_i32 s1, s28, s1
	s_add_u32 s1, s29, s1
	s_addc_u32 s29, 0, s30
	s_add_u32 s30, s0, s1
	s_cselect_b64 s[0:1], -1, 0
	s_cmp_lg_u64 s[0:1], 0
	s_addc_u32 s28, s28, s29
	s_mul_i32 s0, s7, s28
	s_mul_hi_u32 s1, s7, s30
	s_add_i32 s0, s1, s0
	s_mul_i32 s21, s21, s30
	s_add_i32 s0, s0, s21
	s_mul_i32 s7, s7, s30
	s_mul_hi_u32 s21, s28, s7
	s_mul_i32 s29, s28, s7
	s_mul_i32 s33, s30, s0
	s_mul_hi_u32 s7, s30, s7
	s_mul_hi_u32 s31, s30, s0
	s_add_u32 s7, s7, s33
	s_addc_u32 s31, 0, s31
	s_add_u32 s7, s7, s29
	s_mul_hi_u32 s1, s28, s0
	s_addc_u32 s7, s31, s21
	s_addc_u32 s1, s1, 0
	s_mul_i32 s0, s28, s0
	s_add_u32 s0, s7, s0
	s_addc_u32 s7, 0, s1
	s_add_u32 s21, s30, s0
	s_cselect_b64 s[0:1], -1, 0
	v_ashrrev_i32_e32 v3, 31, v13
	s_cmp_lg_u64 s[0:1], 0
	v_add_co_u32_e32 v10, vcc, v12, v3
	s_addc_u32 s7, s28, s7
	v_xor_b32_e32 v14, v10, v3
	v_addc_co_u32_e32 v12, vcc, v13, v3, vcc
	v_mad_u64_u32 v[10:11], s[0:1], v14, s7, 0
	v_mul_hi_u32 v13, v14, s21
	v_xor_b32_e32 v15, v12, v3
	v_xor_b32_e32 v3, s20, v3
	v_add_co_u32_e32 v16, vcc, v13, v10
	v_addc_co_u32_e32 v17, vcc, 0, v11, vcc
	v_mad_u64_u32 v[10:11], s[0:1], v15, s21, 0
	v_mad_u64_u32 v[12:13], s[0:1], v15, s7, 0
	v_add_co_u32_e32 v10, vcc, v16, v10
	v_addc_co_u32_e32 v10, vcc, v17, v11, vcc
	v_addc_co_u32_e32 v11, vcc, 0, v13, vcc
	v_add_co_u32_e32 v12, vcc, v10, v12
	v_addc_co_u32_e32 v13, vcc, 0, v11, vcc
	v_mul_lo_u32 v16, s23, v12
	v_mul_lo_u32 v17, s22, v13
	v_mad_u64_u32 v[10:11], s[0:1], s22, v12, 0
	v_add3_u32 v11, v11, v17, v16
	v_sub_u32_e32 v16, v15, v11
	v_mov_b32_e32 v17, s23
	v_sub_co_u32_e32 v10, vcc, v14, v10
	v_subb_co_u32_e64 v14, s[0:1], v16, v17, vcc
	v_subrev_co_u32_e64 v16, s[0:1], s22, v10
	v_subbrev_co_u32_e64 v14, s[0:1], 0, v14, s[0:1]
	v_cmp_le_u32_e64 s[0:1], s23, v14
	v_cndmask_b32_e64 v17, 0, -1, s[0:1]
	v_cmp_le_u32_e64 s[0:1], s22, v16
	v_cndmask_b32_e64 v16, 0, -1, s[0:1]
	v_cmp_eq_u32_e64 s[0:1], s23, v14
	v_cndmask_b32_e64 v14, v17, v16, s[0:1]
	v_add_co_u32_e64 v16, s[0:1], 2, v12
	v_subb_co_u32_e32 v11, vcc, v15, v11, vcc
	v_addc_co_u32_e64 v17, s[0:1], 0, v13, s[0:1]
	v_cmp_le_u32_e32 vcc, s23, v11
	v_add_co_u32_e64 v18, s[0:1], 1, v12
	v_cndmask_b32_e64 v15, 0, -1, vcc
	v_cmp_le_u32_e32 vcc, s22, v10
	v_addc_co_u32_e64 v19, s[0:1], 0, v13, s[0:1]
	v_cndmask_b32_e64 v10, 0, -1, vcc
	v_cmp_eq_u32_e32 vcc, s23, v11
	v_cmp_ne_u32_e64 s[0:1], 0, v14
	v_cndmask_b32_e32 v10, v15, v10, vcc
	v_cndmask_b32_e64 v14, v19, v17, s[0:1]
	v_cmp_ne_u32_e32 vcc, 0, v10
	v_cndmask_b32_e64 v11, v18, v16, s[0:1]
	v_cndmask_b32_e32 v10, v13, v14, vcc
	v_cndmask_b32_e32 v11, v12, v11, vcc
	v_xor_b32_e32 v12, v10, v3
	v_xor_b32_e32 v10, v11, v3
	v_sub_co_u32_e32 v10, vcc, v10, v3
	v_subb_co_u32_e32 v11, vcc, v12, v3, vcc
                                        ; implicit-def: $vgpr12_vgpr13
.LBB20_9:                               ;   in Loop: Header=BB20_3 Depth=1
	s_andn2_saveexec_b64 s[0:1], s[10:11]
	s_cbranch_execz .LBB20_11
; %bb.10:                               ;   in Loop: Header=BB20_3 Depth=1
	v_cvt_f32_u32_e32 v3, s16
	s_sub_i32 s7, 0, s16
	v_rcp_iflag_f32_e32 v3, v3
	v_mul_f32_e32 v3, 0x4f7ffffe, v3
	v_cvt_u32_f32_e32 v3, v3
	v_mul_lo_u32 v10, s7, v3
	v_mul_hi_u32 v10, v3, v10
	v_add_u32_e32 v3, v3, v10
	v_mul_hi_u32 v3, v12, v3
	v_mul_lo_u32 v10, v3, s16
	v_add_u32_e32 v11, 1, v3
	v_sub_u32_e32 v10, v12, v10
	v_subrev_u32_e32 v12, s16, v10
	v_cmp_le_u32_e32 vcc, s16, v10
	v_cndmask_b32_e32 v10, v10, v12, vcc
	v_cndmask_b32_e32 v3, v3, v11, vcc
	v_add_u32_e32 v11, 1, v3
	v_cmp_le_u32_e32 vcc, s16, v10
	v_cndmask_b32_e32 v10, v3, v11, vcc
	v_mov_b32_e32 v11, v2
.LBB20_11:                              ;   in Loop: Header=BB20_3 Depth=1
	s_or_b64 exec, exec, s[0:1]
	v_or_b32_e32 v3, s15, v11
	v_cmp_ne_u64_e32 vcc, 0, v[2:3]
                                        ; implicit-def: $vgpr12_vgpr13
	s_and_saveexec_b64 s[0:1], vcc
	s_xor_b64 s[10:11], exec, s[0:1]
	s_cbranch_execz .LBB20_13
; %bb.12:                               ;   in Loop: Header=BB20_3 Depth=1
	s_ashr_i32 s20, s15, 31
	s_add_u32 s0, s14, s20
	s_mov_b32 s21, s20
	s_addc_u32 s1, s15, s20
	s_xor_b64 s[22:23], s[0:1], s[20:21]
	v_cvt_f32_u32_e32 v3, s22
	v_cvt_f32_u32_e32 v12, s23
	s_sub_u32 s7, 0, s22
	s_subb_u32 s21, 0, s23
	v_mac_f32_e32 v3, 0x4f800000, v12
	v_rcp_f32_e32 v3, v3
	v_mul_f32_e32 v3, 0x5f7ffffc, v3
	v_mul_f32_e32 v12, 0x2f800000, v3
	v_trunc_f32_e32 v12, v12
	v_mac_f32_e32 v3, 0xcf800000, v12
	v_cvt_u32_f32_e32 v12, v12
	v_cvt_u32_f32_e32 v3, v3
	v_readfirstlane_b32 s28, v12
	v_readfirstlane_b32 s0, v3
	s_mul_i32 s1, s7, s28
	s_mul_hi_u32 s30, s7, s0
	s_mul_i32 s29, s21, s0
	s_add_i32 s1, s30, s1
	s_add_i32 s1, s1, s29
	s_mul_i32 s31, s7, s0
	s_mul_i32 s30, s0, s1
	s_mul_hi_u32 s33, s0, s31
	s_mul_hi_u32 s29, s0, s1
	s_add_u32 s30, s33, s30
	s_addc_u32 s29, 0, s29
	s_mul_hi_u32 s34, s28, s31
	s_mul_i32 s31, s28, s31
	s_add_u32 s30, s30, s31
	s_mul_hi_u32 s33, s28, s1
	s_addc_u32 s29, s29, s34
	s_addc_u32 s30, s33, 0
	s_mul_i32 s1, s28, s1
	s_add_u32 s1, s29, s1
	s_addc_u32 s29, 0, s30
	s_add_u32 s30, s0, s1
	s_cselect_b64 s[0:1], -1, 0
	s_cmp_lg_u64 s[0:1], 0
	s_addc_u32 s28, s28, s29
	s_mul_i32 s0, s7, s28
	s_mul_hi_u32 s1, s7, s30
	s_add_i32 s0, s1, s0
	s_mul_i32 s21, s21, s30
	s_add_i32 s0, s0, s21
	s_mul_i32 s7, s7, s30
	s_mul_hi_u32 s21, s28, s7
	s_mul_i32 s29, s28, s7
	s_mul_i32 s33, s30, s0
	s_mul_hi_u32 s7, s30, s7
	s_mul_hi_u32 s31, s30, s0
	s_add_u32 s7, s7, s33
	s_addc_u32 s31, 0, s31
	s_add_u32 s7, s7, s29
	s_mul_hi_u32 s1, s28, s0
	s_addc_u32 s7, s31, s21
	s_addc_u32 s1, s1, 0
	s_mul_i32 s0, s28, s0
	s_add_u32 s0, s7, s0
	s_addc_u32 s7, 0, s1
	s_add_u32 s21, s30, s0
	s_cselect_b64 s[0:1], -1, 0
	v_ashrrev_i32_e32 v3, 31, v11
	s_cmp_lg_u64 s[0:1], 0
	v_add_co_u32_e32 v12, vcc, v10, v3
	s_addc_u32 s7, s28, s7
	v_xor_b32_e32 v15, v12, v3
	v_addc_co_u32_e32 v13, vcc, v11, v3, vcc
	v_mad_u64_u32 v[11:12], s[0:1], v15, s7, 0
	v_mul_hi_u32 v14, v15, s21
	v_xor_b32_e32 v16, v13, v3
	v_xor_b32_e32 v3, s20, v3
	v_add_co_u32_e32 v17, vcc, v14, v11
	v_addc_co_u32_e32 v18, vcc, 0, v12, vcc
	v_mad_u64_u32 v[11:12], s[0:1], v16, s21, 0
	v_mad_u64_u32 v[13:14], s[0:1], v16, s7, 0
	v_add_co_u32_e32 v11, vcc, v17, v11
	v_addc_co_u32_e32 v11, vcc, v18, v12, vcc
	v_addc_co_u32_e32 v12, vcc, 0, v14, vcc
	v_add_co_u32_e32 v13, vcc, v11, v13
	v_addc_co_u32_e32 v11, vcc, 0, v12, vcc
	v_mul_lo_u32 v14, s23, v13
	v_mul_lo_u32 v17, s22, v11
	v_mad_u64_u32 v[11:12], s[0:1], s22, v13, 0
	v_add3_u32 v12, v12, v17, v14
	v_sub_u32_e32 v14, v16, v12
	v_mov_b32_e32 v17, s23
	v_sub_co_u32_e32 v11, vcc, v15, v11
	v_subb_co_u32_e64 v14, s[0:1], v14, v17, vcc
	v_subrev_co_u32_e64 v15, s[0:1], s22, v11
	v_subbrev_co_u32_e64 v14, s[0:1], 0, v14, s[0:1]
	v_cmp_le_u32_e64 s[0:1], s23, v14
	v_subb_co_u32_e32 v12, vcc, v16, v12, vcc
	v_cndmask_b32_e64 v17, 0, -1, s[0:1]
	v_cmp_le_u32_e64 s[0:1], s22, v15
	v_cmp_le_u32_e32 vcc, s23, v12
	v_cndmask_b32_e64 v15, 0, -1, s[0:1]
	v_cmp_eq_u32_e64 s[0:1], s23, v14
	v_cndmask_b32_e64 v16, 0, -1, vcc
	v_cmp_le_u32_e32 vcc, s22, v11
	v_cndmask_b32_e64 v14, v17, v15, s[0:1]
	v_cndmask_b32_e64 v11, 0, -1, vcc
	v_cmp_eq_u32_e32 vcc, s23, v12
	v_add_co_u32_e64 v15, s[0:1], 2, v13
	v_add_co_u32_e64 v17, s[0:1], 1, v13
	v_cndmask_b32_e32 v11, v16, v11, vcc
	v_cmp_ne_u32_e32 vcc, 0, v14
	v_cndmask_b32_e32 v12, v17, v15, vcc
	v_cmp_ne_u32_e32 vcc, 0, v11
	v_cndmask_b32_e32 v11, v13, v12, vcc
	v_xor_b32_e32 v11, v11, v3
	v_sub_co_u32_e32 v12, vcc, v11, v3
.LBB20_13:                              ;   in Loop: Header=BB20_3 Depth=1
	s_andn2_saveexec_b64 s[0:1], s[10:11]
	s_cbranch_execz .LBB20_2
; %bb.14:                               ;   in Loop: Header=BB20_3 Depth=1
	v_cvt_f32_u32_e32 v3, s14
	s_sub_i32 s7, 0, s14
	v_rcp_iflag_f32_e32 v3, v3
	v_mul_f32_e32 v3, 0x4f7ffffe, v3
	v_cvt_u32_f32_e32 v3, v3
	v_mul_lo_u32 v11, s7, v3
	v_mul_hi_u32 v11, v3, v11
	v_add_u32_e32 v3, v3, v11
	v_mul_hi_u32 v3, v10, v3
	v_mul_lo_u32 v11, v3, s14
	v_add_u32_e32 v12, 1, v3
	v_sub_u32_e32 v11, v10, v11
	v_subrev_u32_e32 v13, s14, v11
	v_cmp_le_u32_e32 vcc, s14, v11
	v_cndmask_b32_e32 v11, v11, v13, vcc
	v_cndmask_b32_e32 v3, v3, v12, vcc
	v_add_u32_e32 v12, 1, v3
	v_cmp_le_u32_e32 vcc, s14, v11
	v_cndmask_b32_e32 v12, v3, v12, vcc
	s_branch .LBB20_2
.LBB20_15:
	s_endpgm
	.section	.rodata,"a",@progbits
	.p2align	6, 0x0
	.amdhsa_kernel _ZN2at6native31max_unpooling2d_backward_kernelIiEEvlPKT_PKllllllPS2_
		.amdhsa_group_segment_fixed_size 0
		.amdhsa_private_segment_fixed_size 0
		.amdhsa_kernarg_size 328
		.amdhsa_user_sgpr_count 6
		.amdhsa_user_sgpr_private_segment_buffer 1
		.amdhsa_user_sgpr_dispatch_ptr 0
		.amdhsa_user_sgpr_queue_ptr 0
		.amdhsa_user_sgpr_kernarg_segment_ptr 1
		.amdhsa_user_sgpr_dispatch_id 0
		.amdhsa_user_sgpr_flat_scratch_init 0
		.amdhsa_user_sgpr_private_segment_size 0
		.amdhsa_uses_dynamic_stack 0
		.amdhsa_system_sgpr_private_segment_wavefront_offset 0
		.amdhsa_system_sgpr_workgroup_id_x 1
		.amdhsa_system_sgpr_workgroup_id_y 0
		.amdhsa_system_sgpr_workgroup_id_z 0
		.amdhsa_system_sgpr_workgroup_info 0
		.amdhsa_system_vgpr_workitem_id 0
		.amdhsa_next_free_vgpr 20
		.amdhsa_next_free_sgpr 35
		.amdhsa_reserve_vcc 1
		.amdhsa_reserve_flat_scratch 0
		.amdhsa_float_round_mode_32 0
		.amdhsa_float_round_mode_16_64 0
		.amdhsa_float_denorm_mode_32 3
		.amdhsa_float_denorm_mode_16_64 3
		.amdhsa_dx10_clamp 1
		.amdhsa_ieee_mode 1
		.amdhsa_fp16_overflow 0
		.amdhsa_exception_fp_ieee_invalid_op 0
		.amdhsa_exception_fp_denorm_src 0
		.amdhsa_exception_fp_ieee_div_zero 0
		.amdhsa_exception_fp_ieee_overflow 0
		.amdhsa_exception_fp_ieee_underflow 0
		.amdhsa_exception_fp_ieee_inexact 0
		.amdhsa_exception_int_div_zero 0
	.end_amdhsa_kernel
	.section	.text._ZN2at6native31max_unpooling2d_backward_kernelIiEEvlPKT_PKllllllPS2_,"axG",@progbits,_ZN2at6native31max_unpooling2d_backward_kernelIiEEvlPKT_PKllllllPS2_,comdat
.Lfunc_end20:
	.size	_ZN2at6native31max_unpooling2d_backward_kernelIiEEvlPKT_PKllllllPS2_, .Lfunc_end20-_ZN2at6native31max_unpooling2d_backward_kernelIiEEvlPKT_PKllllllPS2_
                                        ; -- End function
	.set _ZN2at6native31max_unpooling2d_backward_kernelIiEEvlPKT_PKllllllPS2_.num_vgpr, 20
	.set _ZN2at6native31max_unpooling2d_backward_kernelIiEEvlPKT_PKllllllPS2_.num_agpr, 0
	.set _ZN2at6native31max_unpooling2d_backward_kernelIiEEvlPKT_PKllllllPS2_.numbered_sgpr, 35
	.set _ZN2at6native31max_unpooling2d_backward_kernelIiEEvlPKT_PKllllllPS2_.num_named_barrier, 0
	.set _ZN2at6native31max_unpooling2d_backward_kernelIiEEvlPKT_PKllllllPS2_.private_seg_size, 0
	.set _ZN2at6native31max_unpooling2d_backward_kernelIiEEvlPKT_PKllllllPS2_.uses_vcc, 1
	.set _ZN2at6native31max_unpooling2d_backward_kernelIiEEvlPKT_PKllllllPS2_.uses_flat_scratch, 0
	.set _ZN2at6native31max_unpooling2d_backward_kernelIiEEvlPKT_PKllllllPS2_.has_dyn_sized_stack, 0
	.set _ZN2at6native31max_unpooling2d_backward_kernelIiEEvlPKT_PKllllllPS2_.has_recursion, 0
	.set _ZN2at6native31max_unpooling2d_backward_kernelIiEEvlPKT_PKllllllPS2_.has_indirect_call, 0
	.section	.AMDGPU.csdata,"",@progbits
; Kernel info:
; codeLenInByte = 2560
; TotalNumSgprs: 39
; NumVgprs: 20
; ScratchSize: 0
; MemoryBound: 0
; FloatMode: 240
; IeeeMode: 1
; LDSByteSize: 0 bytes/workgroup (compile time only)
; SGPRBlocks: 4
; VGPRBlocks: 4
; NumSGPRsForWavesPerEU: 39
; NumVGPRsForWavesPerEU: 20
; Occupancy: 10
; WaveLimiterHint : 1
; COMPUTE_PGM_RSRC2:SCRATCH_EN: 0
; COMPUTE_PGM_RSRC2:USER_SGPR: 6
; COMPUTE_PGM_RSRC2:TRAP_HANDLER: 0
; COMPUTE_PGM_RSRC2:TGID_X_EN: 1
; COMPUTE_PGM_RSRC2:TGID_Y_EN: 0
; COMPUTE_PGM_RSRC2:TGID_Z_EN: 0
; COMPUTE_PGM_RSRC2:TIDIG_COMP_CNT: 0
	.section	.text._ZN2at6native31max_unpooling2d_backward_kernelIlEEvlPKT_PKllllllPS2_,"axG",@progbits,_ZN2at6native31max_unpooling2d_backward_kernelIlEEvlPKT_PKllllllPS2_,comdat
	.protected	_ZN2at6native31max_unpooling2d_backward_kernelIlEEvlPKT_PKllllllPS2_ ; -- Begin function _ZN2at6native31max_unpooling2d_backward_kernelIlEEvlPKT_PKllllllPS2_
	.globl	_ZN2at6native31max_unpooling2d_backward_kernelIlEEvlPKT_PKllllllPS2_
	.p2align	8
	.type	_ZN2at6native31max_unpooling2d_backward_kernelIlEEvlPKT_PKllllllPS2_,@function
_ZN2at6native31max_unpooling2d_backward_kernelIlEEvlPKT_PKllllllPS2_: ; @_ZN2at6native31max_unpooling2d_backward_kernelIlEEvlPKT_PKllllllPS2_
; %bb.0:
	s_load_dword s2, s[4:5], 0x54
	s_load_dwordx16 s[8:23], s[4:5], 0x0
	s_add_u32 s0, s4, 0x48
	v_mov_b32_e32 v2, 0
	s_addc_u32 s1, s5, 0
	s_waitcnt lgkmcnt(0)
	s_and_b32 s7, s2, 0xffff
	v_mov_b32_e32 v1, v2
	v_mov_b32_e32 v3, s6
	v_mad_u64_u32 v[0:1], s[2:3], s7, v3, v[0:1]
	v_cmp_gt_i64_e32 vcc, s[8:9], v[0:1]
	s_and_saveexec_b64 s[2:3], vcc
	s_cbranch_execz .LBB21_15
; %bb.1:
	s_load_dwordx2 s[2:3], s[4:5], 0x40
	s_load_dword s6, s[0:1], 0x0
	s_mul_i32 s0, s22, s21
	s_mul_hi_u32 s1, s22, s20
	v_mov_b32_e32 v3, v0
	s_add_i32 s0, s1, s0
	s_mul_i32 s1, s23, s20
	s_waitcnt lgkmcnt(0)
	s_mul_i32 s26, s6, s7
	v_mov_b32_e32 v4, s10
	v_mov_b32_e32 v7, v3
	s_add_i32 s24, s0, s1
	s_mul_i32 s25, s22, s20
	s_mov_b32 s27, s26
	s_mov_b64 s[4:5], 0
	v_mov_b32_e32 v5, s11
	s_ashr_i32 s6, s19, 31
	v_mov_b32_e32 v6, v2
	s_branch .LBB21_3
.LBB21_2:                               ;   in Loop: Header=BB21_3 Depth=1
	s_or_b64 exec, exec, s[0:1]
	v_lshlrev_b64 v[8:9], 3, v[8:9]
	v_mov_b32_e32 v3, s13
	v_add_co_u32_e32 v13, vcc, s12, v8
	v_addc_co_u32_e32 v14, vcc, v3, v9, vcc
	global_load_dword v3, v[13:14], off
	v_mul_lo_u32 v11, v12, s14
	v_ashrrev_i32_e32 v13, 31, v12
	v_mul_lo_u32 v14, v12, s15
	v_mul_lo_u32 v13, v13, s14
	v_sub_u32_e32 v10, v10, v11
	v_ashrrev_i32_e32 v11, 31, v10
	v_mad_u64_u32 v[10:11], s[0:1], v12, s14, v[10:11]
	v_add3_u32 v12, v13, v11, v14
	v_mul_lo_u32 v13, s24, v10
	v_mad_u64_u32 v[10:11], s[0:1], s25, v10, 0
	v_mul_lo_u32 v12, s25, v12
	v_add_co_u32_e64 v8, s[0:1], s2, v8
	v_add3_u32 v11, v11, v12, v13
	v_lshlrev_b64 v[10:11], 3, v[10:11]
	v_mov_b32_e32 v12, s27
	v_add_co_u32_e32 v4, vcc, v4, v10
	v_addc_co_u32_e32 v5, vcc, v5, v11, vcc
	s_waitcnt vmcnt(0)
	v_ashrrev_i64 v[10:11], 29, v[2:3]
	v_mov_b32_e32 v3, s3
	v_add_co_u32_e32 v10, vcc, v4, v10
	v_addc_co_u32_e32 v11, vcc, v5, v11, vcc
	global_load_dwordx2 v[10:11], v[10:11], off
	v_add_co_u32_e32 v0, vcc, s26, v0
	v_addc_co_u32_e32 v1, vcc, 0, v1, vcc
	v_cmp_le_i64_e32 vcc, s[8:9], v[0:1]
	v_addc_co_u32_e64 v9, s[0:1], v3, v9, s[0:1]
	s_or_b64 s[4:5], vcc, s[4:5]
	v_add_co_u32_e32 v6, vcc, 0, v6
	v_addc_co_u32_e32 v7, vcc, v7, v12, vcc
	s_waitcnt vmcnt(0)
	global_store_dwordx2 v[8:9], v[10:11], off
	s_andn2_b64 exec, exec, s[4:5]
	s_cbranch_execz .LBB21_15
.LBB21_3:                               ; =>This Inner Loop Header: Depth=1
	v_ashrrev_i32_e32 v9, 31, v7
	v_or_b32_e32 v3, s19, v9
	v_cmp_ne_u64_e32 vcc, 0, v[2:3]
	v_mov_b32_e32 v8, v7
                                        ; implicit-def: $vgpr12_vgpr13
	s_and_saveexec_b64 s[0:1], vcc
	s_xor_b64 s[10:11], exec, s[0:1]
	s_cbranch_execz .LBB21_5
; %bb.4:                                ;   in Loop: Header=BB21_3 Depth=1
	s_add_u32 s0, s18, s6
	s_mov_b32 s7, s6
	s_addc_u32 s1, s19, s6
	s_xor_b64 s[20:21], s[0:1], s[6:7]
	v_cvt_f32_u32_e32 v3, s20
	v_cvt_f32_u32_e32 v10, s21
	s_sub_u32 s7, 0, s20
	s_subb_u32 s22, 0, s21
	v_mac_f32_e32 v3, 0x4f800000, v10
	v_rcp_f32_e32 v3, v3
	v_mul_f32_e32 v3, 0x5f7ffffc, v3
	v_mul_f32_e32 v10, 0x2f800000, v3
	v_trunc_f32_e32 v10, v10
	v_mac_f32_e32 v3, 0xcf800000, v10
	v_cvt_u32_f32_e32 v10, v10
	v_cvt_u32_f32_e32 v3, v3
	v_readfirstlane_b32 s23, v10
	v_readfirstlane_b32 s0, v3
	s_mul_i32 s1, s7, s23
	s_mul_hi_u32 s29, s7, s0
	s_mul_i32 s28, s22, s0
	s_add_i32 s1, s29, s1
	s_add_i32 s1, s1, s28
	s_mul_i32 s30, s7, s0
	s_mul_i32 s29, s0, s1
	s_mul_hi_u32 s31, s0, s30
	s_mul_hi_u32 s28, s0, s1
	s_add_u32 s29, s31, s29
	s_addc_u32 s28, 0, s28
	s_mul_hi_u32 s33, s23, s30
	s_mul_i32 s30, s23, s30
	s_add_u32 s29, s29, s30
	s_mul_hi_u32 s31, s23, s1
	s_addc_u32 s28, s28, s33
	s_addc_u32 s29, s31, 0
	s_mul_i32 s1, s23, s1
	s_add_u32 s1, s28, s1
	s_addc_u32 s28, 0, s29
	s_add_u32 s29, s0, s1
	s_cselect_b64 s[0:1], -1, 0
	s_cmp_lg_u64 s[0:1], 0
	s_addc_u32 s23, s23, s28
	s_mul_i32 s0, s7, s23
	s_mul_hi_u32 s1, s7, s29
	s_add_i32 s0, s1, s0
	s_mul_i32 s22, s22, s29
	s_add_i32 s0, s0, s22
	s_mul_i32 s7, s7, s29
	s_mul_hi_u32 s22, s23, s7
	s_mul_i32 s28, s23, s7
	s_mul_i32 s31, s29, s0
	s_mul_hi_u32 s7, s29, s7
	s_mul_hi_u32 s30, s29, s0
	s_add_u32 s7, s7, s31
	s_addc_u32 s30, 0, s30
	s_add_u32 s7, s7, s28
	s_mul_hi_u32 s1, s23, s0
	s_addc_u32 s7, s30, s22
	s_addc_u32 s1, s1, 0
	s_mul_i32 s0, s23, s0
	s_add_u32 s0, s7, s0
	s_addc_u32 s7, 0, s1
	s_add_u32 s22, s29, s0
	s_cselect_b64 s[0:1], -1, 0
	v_ashrrev_i32_e32 v3, 31, v9
	s_cmp_lg_u64 s[0:1], 0
	v_add_co_u32_e32 v10, vcc, v8, v3
	s_addc_u32 s7, s23, s7
	v_xor_b32_e32 v14, v10, v3
	v_mad_u64_u32 v[10:11], s[0:1], v14, s7, 0
	v_mul_hi_u32 v13, v14, s22
	v_addc_co_u32_e32 v12, vcc, v9, v3, vcc
	v_xor_b32_e32 v15, v12, v3
	v_add_co_u32_e32 v16, vcc, v13, v10
	v_addc_co_u32_e32 v17, vcc, 0, v11, vcc
	v_mad_u64_u32 v[10:11], s[0:1], v15, s22, 0
	v_mad_u64_u32 v[12:13], s[0:1], v15, s7, 0
	v_add_co_u32_e32 v10, vcc, v16, v10
	v_addc_co_u32_e32 v10, vcc, v17, v11, vcc
	v_addc_co_u32_e32 v11, vcc, 0, v13, vcc
	v_add_co_u32_e32 v12, vcc, v10, v12
	v_addc_co_u32_e32 v13, vcc, 0, v11, vcc
	v_mul_lo_u32 v16, s21, v12
	v_mul_lo_u32 v17, s20, v13
	v_mad_u64_u32 v[10:11], s[0:1], s20, v12, 0
	v_xor_b32_e32 v3, s6, v3
	v_add3_u32 v11, v11, v17, v16
	v_sub_u32_e32 v16, v15, v11
	v_mov_b32_e32 v17, s21
	v_sub_co_u32_e32 v10, vcc, v14, v10
	v_subb_co_u32_e64 v14, s[0:1], v16, v17, vcc
	v_subrev_co_u32_e64 v16, s[0:1], s20, v10
	v_subbrev_co_u32_e64 v14, s[0:1], 0, v14, s[0:1]
	v_cmp_le_u32_e64 s[0:1], s21, v14
	v_cndmask_b32_e64 v17, 0, -1, s[0:1]
	v_cmp_le_u32_e64 s[0:1], s20, v16
	v_cndmask_b32_e64 v16, 0, -1, s[0:1]
	v_cmp_eq_u32_e64 s[0:1], s21, v14
	v_cndmask_b32_e64 v14, v17, v16, s[0:1]
	v_add_co_u32_e64 v16, s[0:1], 2, v12
	v_subb_co_u32_e32 v11, vcc, v15, v11, vcc
	v_addc_co_u32_e64 v17, s[0:1], 0, v13, s[0:1]
	v_cmp_le_u32_e32 vcc, s21, v11
	v_add_co_u32_e64 v18, s[0:1], 1, v12
	v_cndmask_b32_e64 v15, 0, -1, vcc
	v_cmp_le_u32_e32 vcc, s20, v10
	v_addc_co_u32_e64 v19, s[0:1], 0, v13, s[0:1]
	v_cndmask_b32_e64 v10, 0, -1, vcc
	v_cmp_eq_u32_e32 vcc, s21, v11
	v_cmp_ne_u32_e64 s[0:1], 0, v14
	v_cndmask_b32_e32 v10, v15, v10, vcc
	v_cmp_ne_u32_e32 vcc, 0, v10
	v_cndmask_b32_e64 v11, v18, v16, s[0:1]
	v_cndmask_b32_e64 v14, v19, v17, s[0:1]
	v_cndmask_b32_e32 v11, v12, v11, vcc
	v_cndmask_b32_e32 v10, v13, v14, vcc
	v_xor_b32_e32 v11, v11, v3
	v_xor_b32_e32 v10, v10, v3
	v_sub_co_u32_e32 v12, vcc, v11, v3
	v_subb_co_u32_e32 v13, vcc, v10, v3, vcc
.LBB21_5:                               ;   in Loop: Header=BB21_3 Depth=1
	s_andn2_saveexec_b64 s[0:1], s[10:11]
	s_cbranch_execz .LBB21_7
; %bb.6:                                ;   in Loop: Header=BB21_3 Depth=1
	v_cvt_f32_u32_e32 v3, s18
	s_sub_i32 s7, 0, s18
	v_mov_b32_e32 v13, v2
	v_rcp_iflag_f32_e32 v3, v3
	v_mul_f32_e32 v3, 0x4f7ffffe, v3
	v_cvt_u32_f32_e32 v3, v3
	v_mul_lo_u32 v10, s7, v3
	v_mul_hi_u32 v10, v3, v10
	v_add_u32_e32 v3, v3, v10
	v_mul_hi_u32 v3, v7, v3
	v_mul_lo_u32 v10, v3, s18
	v_add_u32_e32 v11, 1, v3
	v_sub_u32_e32 v10, v7, v10
	v_subrev_u32_e32 v12, s18, v10
	v_cmp_le_u32_e32 vcc, s18, v10
	v_cndmask_b32_e32 v10, v10, v12, vcc
	v_cndmask_b32_e32 v3, v3, v11, vcc
	v_add_u32_e32 v11, 1, v3
	v_cmp_le_u32_e32 vcc, s18, v10
	v_cndmask_b32_e32 v12, v3, v11, vcc
.LBB21_7:                               ;   in Loop: Header=BB21_3 Depth=1
	s_or_b64 exec, exec, s[0:1]
	v_or_b32_e32 v3, s17, v13
	v_cmp_ne_u64_e32 vcc, 0, v[2:3]
                                        ; implicit-def: $vgpr10_vgpr11
	s_and_saveexec_b64 s[0:1], vcc
	s_xor_b64 s[10:11], exec, s[0:1]
	s_cbranch_execz .LBB21_9
; %bb.8:                                ;   in Loop: Header=BB21_3 Depth=1
	s_ashr_i32 s20, s17, 31
	s_add_u32 s0, s16, s20
	s_mov_b32 s21, s20
	s_addc_u32 s1, s17, s20
	s_xor_b64 s[22:23], s[0:1], s[20:21]
	v_cvt_f32_u32_e32 v3, s22
	v_cvt_f32_u32_e32 v10, s23
	s_sub_u32 s7, 0, s22
	s_subb_u32 s21, 0, s23
	v_mac_f32_e32 v3, 0x4f800000, v10
	v_rcp_f32_e32 v3, v3
	v_mul_f32_e32 v3, 0x5f7ffffc, v3
	v_mul_f32_e32 v10, 0x2f800000, v3
	v_trunc_f32_e32 v10, v10
	v_mac_f32_e32 v3, 0xcf800000, v10
	v_cvt_u32_f32_e32 v10, v10
	v_cvt_u32_f32_e32 v3, v3
	v_readfirstlane_b32 s28, v10
	v_readfirstlane_b32 s0, v3
	s_mul_i32 s1, s7, s28
	s_mul_hi_u32 s30, s7, s0
	s_mul_i32 s29, s21, s0
	s_add_i32 s1, s30, s1
	s_add_i32 s1, s1, s29
	s_mul_i32 s31, s7, s0
	s_mul_i32 s30, s0, s1
	s_mul_hi_u32 s33, s0, s31
	s_mul_hi_u32 s29, s0, s1
	s_add_u32 s30, s33, s30
	s_addc_u32 s29, 0, s29
	s_mul_hi_u32 s34, s28, s31
	s_mul_i32 s31, s28, s31
	s_add_u32 s30, s30, s31
	s_mul_hi_u32 s33, s28, s1
	s_addc_u32 s29, s29, s34
	s_addc_u32 s30, s33, 0
	s_mul_i32 s1, s28, s1
	s_add_u32 s1, s29, s1
	s_addc_u32 s29, 0, s30
	s_add_u32 s30, s0, s1
	s_cselect_b64 s[0:1], -1, 0
	s_cmp_lg_u64 s[0:1], 0
	s_addc_u32 s28, s28, s29
	s_mul_i32 s0, s7, s28
	s_mul_hi_u32 s1, s7, s30
	s_add_i32 s0, s1, s0
	s_mul_i32 s21, s21, s30
	s_add_i32 s0, s0, s21
	s_mul_i32 s7, s7, s30
	s_mul_hi_u32 s21, s28, s7
	s_mul_i32 s29, s28, s7
	s_mul_i32 s33, s30, s0
	s_mul_hi_u32 s7, s30, s7
	s_mul_hi_u32 s31, s30, s0
	s_add_u32 s7, s7, s33
	s_addc_u32 s31, 0, s31
	s_add_u32 s7, s7, s29
	s_mul_hi_u32 s1, s28, s0
	s_addc_u32 s7, s31, s21
	s_addc_u32 s1, s1, 0
	s_mul_i32 s0, s28, s0
	s_add_u32 s0, s7, s0
	s_addc_u32 s7, 0, s1
	s_add_u32 s21, s30, s0
	s_cselect_b64 s[0:1], -1, 0
	v_ashrrev_i32_e32 v3, 31, v13
	s_cmp_lg_u64 s[0:1], 0
	v_add_co_u32_e32 v10, vcc, v12, v3
	s_addc_u32 s7, s28, s7
	v_xor_b32_e32 v14, v10, v3
	v_addc_co_u32_e32 v12, vcc, v13, v3, vcc
	v_mad_u64_u32 v[10:11], s[0:1], v14, s7, 0
	v_mul_hi_u32 v13, v14, s21
	v_xor_b32_e32 v15, v12, v3
	v_xor_b32_e32 v3, s20, v3
	v_add_co_u32_e32 v16, vcc, v13, v10
	v_addc_co_u32_e32 v17, vcc, 0, v11, vcc
	v_mad_u64_u32 v[10:11], s[0:1], v15, s21, 0
	v_mad_u64_u32 v[12:13], s[0:1], v15, s7, 0
	v_add_co_u32_e32 v10, vcc, v16, v10
	v_addc_co_u32_e32 v10, vcc, v17, v11, vcc
	v_addc_co_u32_e32 v11, vcc, 0, v13, vcc
	v_add_co_u32_e32 v12, vcc, v10, v12
	v_addc_co_u32_e32 v13, vcc, 0, v11, vcc
	v_mul_lo_u32 v16, s23, v12
	v_mul_lo_u32 v17, s22, v13
	v_mad_u64_u32 v[10:11], s[0:1], s22, v12, 0
	v_add3_u32 v11, v11, v17, v16
	v_sub_u32_e32 v16, v15, v11
	v_mov_b32_e32 v17, s23
	v_sub_co_u32_e32 v10, vcc, v14, v10
	v_subb_co_u32_e64 v14, s[0:1], v16, v17, vcc
	v_subrev_co_u32_e64 v16, s[0:1], s22, v10
	v_subbrev_co_u32_e64 v14, s[0:1], 0, v14, s[0:1]
	v_cmp_le_u32_e64 s[0:1], s23, v14
	v_cndmask_b32_e64 v17, 0, -1, s[0:1]
	v_cmp_le_u32_e64 s[0:1], s22, v16
	v_cndmask_b32_e64 v16, 0, -1, s[0:1]
	v_cmp_eq_u32_e64 s[0:1], s23, v14
	v_cndmask_b32_e64 v14, v17, v16, s[0:1]
	v_add_co_u32_e64 v16, s[0:1], 2, v12
	v_subb_co_u32_e32 v11, vcc, v15, v11, vcc
	v_addc_co_u32_e64 v17, s[0:1], 0, v13, s[0:1]
	v_cmp_le_u32_e32 vcc, s23, v11
	v_add_co_u32_e64 v18, s[0:1], 1, v12
	v_cndmask_b32_e64 v15, 0, -1, vcc
	v_cmp_le_u32_e32 vcc, s22, v10
	v_addc_co_u32_e64 v19, s[0:1], 0, v13, s[0:1]
	v_cndmask_b32_e64 v10, 0, -1, vcc
	v_cmp_eq_u32_e32 vcc, s23, v11
	v_cmp_ne_u32_e64 s[0:1], 0, v14
	v_cndmask_b32_e32 v10, v15, v10, vcc
	v_cndmask_b32_e64 v14, v19, v17, s[0:1]
	v_cmp_ne_u32_e32 vcc, 0, v10
	v_cndmask_b32_e64 v11, v18, v16, s[0:1]
	v_cndmask_b32_e32 v10, v13, v14, vcc
	v_cndmask_b32_e32 v11, v12, v11, vcc
	v_xor_b32_e32 v12, v10, v3
	v_xor_b32_e32 v10, v11, v3
	v_sub_co_u32_e32 v10, vcc, v10, v3
	v_subb_co_u32_e32 v11, vcc, v12, v3, vcc
                                        ; implicit-def: $vgpr12_vgpr13
.LBB21_9:                               ;   in Loop: Header=BB21_3 Depth=1
	s_andn2_saveexec_b64 s[0:1], s[10:11]
	s_cbranch_execz .LBB21_11
; %bb.10:                               ;   in Loop: Header=BB21_3 Depth=1
	v_cvt_f32_u32_e32 v3, s16
	s_sub_i32 s7, 0, s16
	v_rcp_iflag_f32_e32 v3, v3
	v_mul_f32_e32 v3, 0x4f7ffffe, v3
	v_cvt_u32_f32_e32 v3, v3
	v_mul_lo_u32 v10, s7, v3
	v_mul_hi_u32 v10, v3, v10
	v_add_u32_e32 v3, v3, v10
	v_mul_hi_u32 v3, v12, v3
	v_mul_lo_u32 v10, v3, s16
	v_add_u32_e32 v11, 1, v3
	v_sub_u32_e32 v10, v12, v10
	v_subrev_u32_e32 v12, s16, v10
	v_cmp_le_u32_e32 vcc, s16, v10
	v_cndmask_b32_e32 v10, v10, v12, vcc
	v_cndmask_b32_e32 v3, v3, v11, vcc
	v_add_u32_e32 v11, 1, v3
	v_cmp_le_u32_e32 vcc, s16, v10
	v_cndmask_b32_e32 v10, v3, v11, vcc
	v_mov_b32_e32 v11, v2
.LBB21_11:                              ;   in Loop: Header=BB21_3 Depth=1
	s_or_b64 exec, exec, s[0:1]
	v_or_b32_e32 v3, s15, v11
	v_cmp_ne_u64_e32 vcc, 0, v[2:3]
                                        ; implicit-def: $vgpr12_vgpr13
	s_and_saveexec_b64 s[0:1], vcc
	s_xor_b64 s[10:11], exec, s[0:1]
	s_cbranch_execz .LBB21_13
; %bb.12:                               ;   in Loop: Header=BB21_3 Depth=1
	s_ashr_i32 s20, s15, 31
	s_add_u32 s0, s14, s20
	s_mov_b32 s21, s20
	s_addc_u32 s1, s15, s20
	s_xor_b64 s[22:23], s[0:1], s[20:21]
	v_cvt_f32_u32_e32 v3, s22
	v_cvt_f32_u32_e32 v12, s23
	s_sub_u32 s7, 0, s22
	s_subb_u32 s21, 0, s23
	v_mac_f32_e32 v3, 0x4f800000, v12
	v_rcp_f32_e32 v3, v3
	v_mul_f32_e32 v3, 0x5f7ffffc, v3
	v_mul_f32_e32 v12, 0x2f800000, v3
	v_trunc_f32_e32 v12, v12
	v_mac_f32_e32 v3, 0xcf800000, v12
	v_cvt_u32_f32_e32 v12, v12
	v_cvt_u32_f32_e32 v3, v3
	v_readfirstlane_b32 s28, v12
	v_readfirstlane_b32 s0, v3
	s_mul_i32 s1, s7, s28
	s_mul_hi_u32 s30, s7, s0
	s_mul_i32 s29, s21, s0
	s_add_i32 s1, s30, s1
	s_add_i32 s1, s1, s29
	s_mul_i32 s31, s7, s0
	s_mul_i32 s30, s0, s1
	s_mul_hi_u32 s33, s0, s31
	s_mul_hi_u32 s29, s0, s1
	s_add_u32 s30, s33, s30
	s_addc_u32 s29, 0, s29
	s_mul_hi_u32 s34, s28, s31
	s_mul_i32 s31, s28, s31
	s_add_u32 s30, s30, s31
	s_mul_hi_u32 s33, s28, s1
	s_addc_u32 s29, s29, s34
	s_addc_u32 s30, s33, 0
	s_mul_i32 s1, s28, s1
	s_add_u32 s1, s29, s1
	s_addc_u32 s29, 0, s30
	s_add_u32 s30, s0, s1
	s_cselect_b64 s[0:1], -1, 0
	s_cmp_lg_u64 s[0:1], 0
	s_addc_u32 s28, s28, s29
	s_mul_i32 s0, s7, s28
	s_mul_hi_u32 s1, s7, s30
	s_add_i32 s0, s1, s0
	s_mul_i32 s21, s21, s30
	s_add_i32 s0, s0, s21
	s_mul_i32 s7, s7, s30
	s_mul_hi_u32 s21, s28, s7
	s_mul_i32 s29, s28, s7
	s_mul_i32 s33, s30, s0
	s_mul_hi_u32 s7, s30, s7
	s_mul_hi_u32 s31, s30, s0
	s_add_u32 s7, s7, s33
	s_addc_u32 s31, 0, s31
	s_add_u32 s7, s7, s29
	s_mul_hi_u32 s1, s28, s0
	s_addc_u32 s7, s31, s21
	s_addc_u32 s1, s1, 0
	s_mul_i32 s0, s28, s0
	s_add_u32 s0, s7, s0
	s_addc_u32 s7, 0, s1
	s_add_u32 s21, s30, s0
	s_cselect_b64 s[0:1], -1, 0
	v_ashrrev_i32_e32 v3, 31, v11
	s_cmp_lg_u64 s[0:1], 0
	v_add_co_u32_e32 v12, vcc, v10, v3
	s_addc_u32 s7, s28, s7
	v_xor_b32_e32 v15, v12, v3
	v_addc_co_u32_e32 v13, vcc, v11, v3, vcc
	v_mad_u64_u32 v[11:12], s[0:1], v15, s7, 0
	v_mul_hi_u32 v14, v15, s21
	v_xor_b32_e32 v16, v13, v3
	v_xor_b32_e32 v3, s20, v3
	v_add_co_u32_e32 v17, vcc, v14, v11
	v_addc_co_u32_e32 v18, vcc, 0, v12, vcc
	v_mad_u64_u32 v[11:12], s[0:1], v16, s21, 0
	v_mad_u64_u32 v[13:14], s[0:1], v16, s7, 0
	v_add_co_u32_e32 v11, vcc, v17, v11
	v_addc_co_u32_e32 v11, vcc, v18, v12, vcc
	v_addc_co_u32_e32 v12, vcc, 0, v14, vcc
	v_add_co_u32_e32 v13, vcc, v11, v13
	v_addc_co_u32_e32 v11, vcc, 0, v12, vcc
	v_mul_lo_u32 v14, s23, v13
	v_mul_lo_u32 v17, s22, v11
	v_mad_u64_u32 v[11:12], s[0:1], s22, v13, 0
	v_add3_u32 v12, v12, v17, v14
	v_sub_u32_e32 v14, v16, v12
	v_mov_b32_e32 v17, s23
	v_sub_co_u32_e32 v11, vcc, v15, v11
	v_subb_co_u32_e64 v14, s[0:1], v14, v17, vcc
	v_subrev_co_u32_e64 v15, s[0:1], s22, v11
	v_subbrev_co_u32_e64 v14, s[0:1], 0, v14, s[0:1]
	v_cmp_le_u32_e64 s[0:1], s23, v14
	v_subb_co_u32_e32 v12, vcc, v16, v12, vcc
	v_cndmask_b32_e64 v17, 0, -1, s[0:1]
	v_cmp_le_u32_e64 s[0:1], s22, v15
	v_cmp_le_u32_e32 vcc, s23, v12
	v_cndmask_b32_e64 v15, 0, -1, s[0:1]
	v_cmp_eq_u32_e64 s[0:1], s23, v14
	v_cndmask_b32_e64 v16, 0, -1, vcc
	v_cmp_le_u32_e32 vcc, s22, v11
	v_cndmask_b32_e64 v14, v17, v15, s[0:1]
	v_cndmask_b32_e64 v11, 0, -1, vcc
	v_cmp_eq_u32_e32 vcc, s23, v12
	v_add_co_u32_e64 v15, s[0:1], 2, v13
	v_add_co_u32_e64 v17, s[0:1], 1, v13
	v_cndmask_b32_e32 v11, v16, v11, vcc
	v_cmp_ne_u32_e32 vcc, 0, v14
	v_cndmask_b32_e32 v12, v17, v15, vcc
	v_cmp_ne_u32_e32 vcc, 0, v11
	v_cndmask_b32_e32 v11, v13, v12, vcc
	v_xor_b32_e32 v11, v11, v3
	v_sub_co_u32_e32 v12, vcc, v11, v3
.LBB21_13:                              ;   in Loop: Header=BB21_3 Depth=1
	s_andn2_saveexec_b64 s[0:1], s[10:11]
	s_cbranch_execz .LBB21_2
; %bb.14:                               ;   in Loop: Header=BB21_3 Depth=1
	v_cvt_f32_u32_e32 v3, s14
	s_sub_i32 s7, 0, s14
	v_rcp_iflag_f32_e32 v3, v3
	v_mul_f32_e32 v3, 0x4f7ffffe, v3
	v_cvt_u32_f32_e32 v3, v3
	v_mul_lo_u32 v11, s7, v3
	v_mul_hi_u32 v11, v3, v11
	v_add_u32_e32 v3, v3, v11
	v_mul_hi_u32 v3, v10, v3
	v_mul_lo_u32 v11, v3, s14
	v_add_u32_e32 v12, 1, v3
	v_sub_u32_e32 v11, v10, v11
	v_subrev_u32_e32 v13, s14, v11
	v_cmp_le_u32_e32 vcc, s14, v11
	v_cndmask_b32_e32 v11, v11, v13, vcc
	v_cndmask_b32_e32 v3, v3, v12, vcc
	v_add_u32_e32 v12, 1, v3
	v_cmp_le_u32_e32 vcc, s14, v11
	v_cndmask_b32_e32 v12, v3, v12, vcc
	s_branch .LBB21_2
.LBB21_15:
	s_endpgm
	.section	.rodata,"a",@progbits
	.p2align	6, 0x0
	.amdhsa_kernel _ZN2at6native31max_unpooling2d_backward_kernelIlEEvlPKT_PKllllllPS2_
		.amdhsa_group_segment_fixed_size 0
		.amdhsa_private_segment_fixed_size 0
		.amdhsa_kernarg_size 328
		.amdhsa_user_sgpr_count 6
		.amdhsa_user_sgpr_private_segment_buffer 1
		.amdhsa_user_sgpr_dispatch_ptr 0
		.amdhsa_user_sgpr_queue_ptr 0
		.amdhsa_user_sgpr_kernarg_segment_ptr 1
		.amdhsa_user_sgpr_dispatch_id 0
		.amdhsa_user_sgpr_flat_scratch_init 0
		.amdhsa_user_sgpr_private_segment_size 0
		.amdhsa_uses_dynamic_stack 0
		.amdhsa_system_sgpr_private_segment_wavefront_offset 0
		.amdhsa_system_sgpr_workgroup_id_x 1
		.amdhsa_system_sgpr_workgroup_id_y 0
		.amdhsa_system_sgpr_workgroup_id_z 0
		.amdhsa_system_sgpr_workgroup_info 0
		.amdhsa_system_vgpr_workitem_id 0
		.amdhsa_next_free_vgpr 20
		.amdhsa_next_free_sgpr 35
		.amdhsa_reserve_vcc 1
		.amdhsa_reserve_flat_scratch 0
		.amdhsa_float_round_mode_32 0
		.amdhsa_float_round_mode_16_64 0
		.amdhsa_float_denorm_mode_32 3
		.amdhsa_float_denorm_mode_16_64 3
		.amdhsa_dx10_clamp 1
		.amdhsa_ieee_mode 1
		.amdhsa_fp16_overflow 0
		.amdhsa_exception_fp_ieee_invalid_op 0
		.amdhsa_exception_fp_denorm_src 0
		.amdhsa_exception_fp_ieee_div_zero 0
		.amdhsa_exception_fp_ieee_overflow 0
		.amdhsa_exception_fp_ieee_underflow 0
		.amdhsa_exception_fp_ieee_inexact 0
		.amdhsa_exception_int_div_zero 0
	.end_amdhsa_kernel
	.section	.text._ZN2at6native31max_unpooling2d_backward_kernelIlEEvlPKT_PKllllllPS2_,"axG",@progbits,_ZN2at6native31max_unpooling2d_backward_kernelIlEEvlPKT_PKllllllPS2_,comdat
.Lfunc_end21:
	.size	_ZN2at6native31max_unpooling2d_backward_kernelIlEEvlPKT_PKllllllPS2_, .Lfunc_end21-_ZN2at6native31max_unpooling2d_backward_kernelIlEEvlPKT_PKllllllPS2_
                                        ; -- End function
	.set _ZN2at6native31max_unpooling2d_backward_kernelIlEEvlPKT_PKllllllPS2_.num_vgpr, 20
	.set _ZN2at6native31max_unpooling2d_backward_kernelIlEEvlPKT_PKllllllPS2_.num_agpr, 0
	.set _ZN2at6native31max_unpooling2d_backward_kernelIlEEvlPKT_PKllllllPS2_.numbered_sgpr, 35
	.set _ZN2at6native31max_unpooling2d_backward_kernelIlEEvlPKT_PKllllllPS2_.num_named_barrier, 0
	.set _ZN2at6native31max_unpooling2d_backward_kernelIlEEvlPKT_PKllllllPS2_.private_seg_size, 0
	.set _ZN2at6native31max_unpooling2d_backward_kernelIlEEvlPKT_PKllllllPS2_.uses_vcc, 1
	.set _ZN2at6native31max_unpooling2d_backward_kernelIlEEvlPKT_PKllllllPS2_.uses_flat_scratch, 0
	.set _ZN2at6native31max_unpooling2d_backward_kernelIlEEvlPKT_PKllllllPS2_.has_dyn_sized_stack, 0
	.set _ZN2at6native31max_unpooling2d_backward_kernelIlEEvlPKT_PKllllllPS2_.has_recursion, 0
	.set _ZN2at6native31max_unpooling2d_backward_kernelIlEEvlPKT_PKllllllPS2_.has_indirect_call, 0
	.section	.AMDGPU.csdata,"",@progbits
; Kernel info:
; codeLenInByte = 2552
; TotalNumSgprs: 39
; NumVgprs: 20
; ScratchSize: 0
; MemoryBound: 0
; FloatMode: 240
; IeeeMode: 1
; LDSByteSize: 0 bytes/workgroup (compile time only)
; SGPRBlocks: 4
; VGPRBlocks: 4
; NumSGPRsForWavesPerEU: 39
; NumVGPRsForWavesPerEU: 20
; Occupancy: 10
; WaveLimiterHint : 1
; COMPUTE_PGM_RSRC2:SCRATCH_EN: 0
; COMPUTE_PGM_RSRC2:USER_SGPR: 6
; COMPUTE_PGM_RSRC2:TRAP_HANDLER: 0
; COMPUTE_PGM_RSRC2:TGID_X_EN: 1
; COMPUTE_PGM_RSRC2:TGID_Y_EN: 0
; COMPUTE_PGM_RSRC2:TGID_Z_EN: 0
; COMPUTE_PGM_RSRC2:TIDIG_COMP_CNT: 0
	.section	.text._ZN2at6native31max_unpooling2d_backward_kernelIsEEvlPKT_PKllllllPS2_,"axG",@progbits,_ZN2at6native31max_unpooling2d_backward_kernelIsEEvlPKT_PKllllllPS2_,comdat
	.protected	_ZN2at6native31max_unpooling2d_backward_kernelIsEEvlPKT_PKllllllPS2_ ; -- Begin function _ZN2at6native31max_unpooling2d_backward_kernelIsEEvlPKT_PKllllllPS2_
	.globl	_ZN2at6native31max_unpooling2d_backward_kernelIsEEvlPKT_PKllllllPS2_
	.p2align	8
	.type	_ZN2at6native31max_unpooling2d_backward_kernelIsEEvlPKT_PKllllllPS2_,@function
_ZN2at6native31max_unpooling2d_backward_kernelIsEEvlPKT_PKllllllPS2_: ; @_ZN2at6native31max_unpooling2d_backward_kernelIsEEvlPKT_PKllllllPS2_
; %bb.0:
	s_load_dword s2, s[4:5], 0x54
	s_load_dwordx16 s[8:23], s[4:5], 0x0
	s_add_u32 s0, s4, 0x48
	v_mov_b32_e32 v2, 0
	s_addc_u32 s1, s5, 0
	s_waitcnt lgkmcnt(0)
	s_and_b32 s7, s2, 0xffff
	v_mov_b32_e32 v1, v2
	v_mov_b32_e32 v3, s6
	v_mad_u64_u32 v[0:1], s[2:3], s7, v3, v[0:1]
	v_cmp_gt_i64_e32 vcc, s[8:9], v[0:1]
	s_and_saveexec_b64 s[2:3], vcc
	s_cbranch_execz .LBB22_15
; %bb.1:
	s_load_dwordx2 s[2:3], s[4:5], 0x40
	s_load_dword s6, s[0:1], 0x0
	s_mul_i32 s0, s22, s21
	s_mul_hi_u32 s1, s22, s20
	v_mov_b32_e32 v3, v0
	s_add_i32 s0, s1, s0
	s_mul_i32 s1, s23, s20
	s_waitcnt lgkmcnt(0)
	s_mul_i32 s26, s6, s7
	v_mov_b32_e32 v4, s10
	v_mov_b32_e32 v7, v3
	s_add_i32 s24, s0, s1
	s_mul_i32 s25, s22, s20
	s_mov_b32 s27, s26
	s_mov_b64 s[4:5], 0
	v_mov_b32_e32 v5, s11
	s_ashr_i32 s6, s19, 31
	v_mov_b32_e32 v6, v2
	s_branch .LBB22_3
.LBB22_2:                               ;   in Loop: Header=BB22_3 Depth=1
	s_or_b64 exec, exec, s[0:1]
	v_lshlrev_b64 v[13:14], 3, v[8:9]
	v_mov_b32_e32 v3, s13
	v_add_co_u32_e32 v13, vcc, s12, v13
	v_addc_co_u32_e32 v14, vcc, v3, v14, vcc
	global_load_dword v3, v[13:14], off
	v_mul_lo_u32 v11, v12, s14
	v_ashrrev_i32_e32 v13, 31, v12
	v_mul_lo_u32 v14, v12, s15
	v_mul_lo_u32 v13, v13, s14
	v_sub_u32_e32 v10, v10, v11
	v_ashrrev_i32_e32 v11, 31, v10
	v_mad_u64_u32 v[10:11], s[0:1], v12, s14, v[10:11]
	v_lshlrev_b64 v[8:9], 1, v[8:9]
	v_add3_u32 v12, v13, v11, v14
	v_mul_lo_u32 v13, s24, v10
	v_mad_u64_u32 v[10:11], s[0:1], s25, v10, 0
	v_mul_lo_u32 v12, s25, v12
	v_add_co_u32_e64 v8, s[0:1], s2, v8
	v_add3_u32 v11, v11, v12, v13
	v_lshlrev_b64 v[10:11], 1, v[10:11]
	v_add_co_u32_e32 v4, vcc, v4, v10
	v_addc_co_u32_e32 v5, vcc, v5, v11, vcc
	s_waitcnt vmcnt(0)
	v_ashrrev_i64 v[10:11], 31, v[2:3]
	v_add_co_u32_e32 v10, vcc, v4, v10
	v_addc_co_u32_e32 v11, vcc, v5, v11, vcc
	global_load_ushort v3, v[10:11], off
	v_add_co_u32_e32 v0, vcc, s26, v0
	v_addc_co_u32_e32 v1, vcc, 0, v1, vcc
	v_cmp_le_i64_e32 vcc, s[8:9], v[0:1]
	v_mov_b32_e32 v10, s3
	v_mov_b32_e32 v11, s27
	s_or_b64 s[4:5], vcc, s[4:5]
	v_add_co_u32_e32 v6, vcc, 0, v6
	v_addc_co_u32_e64 v9, s[0:1], v10, v9, s[0:1]
	v_addc_co_u32_e32 v7, vcc, v7, v11, vcc
	s_waitcnt vmcnt(0)
	global_store_short v[8:9], v3, off
	s_andn2_b64 exec, exec, s[4:5]
	s_cbranch_execz .LBB22_15
.LBB22_3:                               ; =>This Inner Loop Header: Depth=1
	v_ashrrev_i32_e32 v9, 31, v7
	v_or_b32_e32 v3, s19, v9
	v_cmp_ne_u64_e32 vcc, 0, v[2:3]
	v_mov_b32_e32 v8, v7
                                        ; implicit-def: $vgpr12_vgpr13
	s_and_saveexec_b64 s[0:1], vcc
	s_xor_b64 s[10:11], exec, s[0:1]
	s_cbranch_execz .LBB22_5
; %bb.4:                                ;   in Loop: Header=BB22_3 Depth=1
	s_add_u32 s0, s18, s6
	s_mov_b32 s7, s6
	s_addc_u32 s1, s19, s6
	s_xor_b64 s[20:21], s[0:1], s[6:7]
	v_cvt_f32_u32_e32 v3, s20
	v_cvt_f32_u32_e32 v10, s21
	s_sub_u32 s7, 0, s20
	s_subb_u32 s22, 0, s21
	v_mac_f32_e32 v3, 0x4f800000, v10
	v_rcp_f32_e32 v3, v3
	v_mul_f32_e32 v3, 0x5f7ffffc, v3
	v_mul_f32_e32 v10, 0x2f800000, v3
	v_trunc_f32_e32 v10, v10
	v_mac_f32_e32 v3, 0xcf800000, v10
	v_cvt_u32_f32_e32 v10, v10
	v_cvt_u32_f32_e32 v3, v3
	v_readfirstlane_b32 s23, v10
	v_readfirstlane_b32 s0, v3
	s_mul_i32 s1, s7, s23
	s_mul_hi_u32 s29, s7, s0
	s_mul_i32 s28, s22, s0
	s_add_i32 s1, s29, s1
	s_add_i32 s1, s1, s28
	s_mul_i32 s30, s7, s0
	s_mul_i32 s29, s0, s1
	s_mul_hi_u32 s31, s0, s30
	s_mul_hi_u32 s28, s0, s1
	s_add_u32 s29, s31, s29
	s_addc_u32 s28, 0, s28
	s_mul_hi_u32 s33, s23, s30
	s_mul_i32 s30, s23, s30
	s_add_u32 s29, s29, s30
	s_mul_hi_u32 s31, s23, s1
	s_addc_u32 s28, s28, s33
	s_addc_u32 s29, s31, 0
	s_mul_i32 s1, s23, s1
	s_add_u32 s1, s28, s1
	s_addc_u32 s28, 0, s29
	s_add_u32 s29, s0, s1
	s_cselect_b64 s[0:1], -1, 0
	s_cmp_lg_u64 s[0:1], 0
	s_addc_u32 s23, s23, s28
	s_mul_i32 s0, s7, s23
	s_mul_hi_u32 s1, s7, s29
	s_add_i32 s0, s1, s0
	s_mul_i32 s22, s22, s29
	s_add_i32 s0, s0, s22
	s_mul_i32 s7, s7, s29
	s_mul_hi_u32 s22, s23, s7
	s_mul_i32 s28, s23, s7
	s_mul_i32 s31, s29, s0
	s_mul_hi_u32 s7, s29, s7
	s_mul_hi_u32 s30, s29, s0
	s_add_u32 s7, s7, s31
	s_addc_u32 s30, 0, s30
	s_add_u32 s7, s7, s28
	s_mul_hi_u32 s1, s23, s0
	s_addc_u32 s7, s30, s22
	s_addc_u32 s1, s1, 0
	s_mul_i32 s0, s23, s0
	s_add_u32 s0, s7, s0
	s_addc_u32 s7, 0, s1
	s_add_u32 s22, s29, s0
	s_cselect_b64 s[0:1], -1, 0
	v_ashrrev_i32_e32 v3, 31, v9
	s_cmp_lg_u64 s[0:1], 0
	v_add_co_u32_e32 v10, vcc, v8, v3
	s_addc_u32 s7, s23, s7
	v_xor_b32_e32 v14, v10, v3
	v_mad_u64_u32 v[10:11], s[0:1], v14, s7, 0
	v_mul_hi_u32 v13, v14, s22
	v_addc_co_u32_e32 v12, vcc, v9, v3, vcc
	v_xor_b32_e32 v15, v12, v3
	v_add_co_u32_e32 v16, vcc, v13, v10
	v_addc_co_u32_e32 v17, vcc, 0, v11, vcc
	v_mad_u64_u32 v[10:11], s[0:1], v15, s22, 0
	v_mad_u64_u32 v[12:13], s[0:1], v15, s7, 0
	v_add_co_u32_e32 v10, vcc, v16, v10
	v_addc_co_u32_e32 v10, vcc, v17, v11, vcc
	v_addc_co_u32_e32 v11, vcc, 0, v13, vcc
	v_add_co_u32_e32 v12, vcc, v10, v12
	v_addc_co_u32_e32 v13, vcc, 0, v11, vcc
	v_mul_lo_u32 v16, s21, v12
	v_mul_lo_u32 v17, s20, v13
	v_mad_u64_u32 v[10:11], s[0:1], s20, v12, 0
	v_xor_b32_e32 v3, s6, v3
	v_add3_u32 v11, v11, v17, v16
	v_sub_u32_e32 v16, v15, v11
	v_mov_b32_e32 v17, s21
	v_sub_co_u32_e32 v10, vcc, v14, v10
	v_subb_co_u32_e64 v14, s[0:1], v16, v17, vcc
	v_subrev_co_u32_e64 v16, s[0:1], s20, v10
	v_subbrev_co_u32_e64 v14, s[0:1], 0, v14, s[0:1]
	v_cmp_le_u32_e64 s[0:1], s21, v14
	v_cndmask_b32_e64 v17, 0, -1, s[0:1]
	v_cmp_le_u32_e64 s[0:1], s20, v16
	v_cndmask_b32_e64 v16, 0, -1, s[0:1]
	v_cmp_eq_u32_e64 s[0:1], s21, v14
	v_cndmask_b32_e64 v14, v17, v16, s[0:1]
	v_add_co_u32_e64 v16, s[0:1], 2, v12
	v_subb_co_u32_e32 v11, vcc, v15, v11, vcc
	v_addc_co_u32_e64 v17, s[0:1], 0, v13, s[0:1]
	v_cmp_le_u32_e32 vcc, s21, v11
	v_add_co_u32_e64 v18, s[0:1], 1, v12
	v_cndmask_b32_e64 v15, 0, -1, vcc
	v_cmp_le_u32_e32 vcc, s20, v10
	v_addc_co_u32_e64 v19, s[0:1], 0, v13, s[0:1]
	v_cndmask_b32_e64 v10, 0, -1, vcc
	v_cmp_eq_u32_e32 vcc, s21, v11
	v_cmp_ne_u32_e64 s[0:1], 0, v14
	v_cndmask_b32_e32 v10, v15, v10, vcc
	v_cmp_ne_u32_e32 vcc, 0, v10
	v_cndmask_b32_e64 v11, v18, v16, s[0:1]
	v_cndmask_b32_e64 v14, v19, v17, s[0:1]
	v_cndmask_b32_e32 v11, v12, v11, vcc
	v_cndmask_b32_e32 v10, v13, v14, vcc
	v_xor_b32_e32 v11, v11, v3
	v_xor_b32_e32 v10, v10, v3
	v_sub_co_u32_e32 v12, vcc, v11, v3
	v_subb_co_u32_e32 v13, vcc, v10, v3, vcc
.LBB22_5:                               ;   in Loop: Header=BB22_3 Depth=1
	s_andn2_saveexec_b64 s[0:1], s[10:11]
	s_cbranch_execz .LBB22_7
; %bb.6:                                ;   in Loop: Header=BB22_3 Depth=1
	v_cvt_f32_u32_e32 v3, s18
	s_sub_i32 s7, 0, s18
	v_mov_b32_e32 v13, v2
	v_rcp_iflag_f32_e32 v3, v3
	v_mul_f32_e32 v3, 0x4f7ffffe, v3
	v_cvt_u32_f32_e32 v3, v3
	v_mul_lo_u32 v10, s7, v3
	v_mul_hi_u32 v10, v3, v10
	v_add_u32_e32 v3, v3, v10
	v_mul_hi_u32 v3, v7, v3
	v_mul_lo_u32 v10, v3, s18
	v_add_u32_e32 v11, 1, v3
	v_sub_u32_e32 v10, v7, v10
	v_subrev_u32_e32 v12, s18, v10
	v_cmp_le_u32_e32 vcc, s18, v10
	v_cndmask_b32_e32 v10, v10, v12, vcc
	v_cndmask_b32_e32 v3, v3, v11, vcc
	v_add_u32_e32 v11, 1, v3
	v_cmp_le_u32_e32 vcc, s18, v10
	v_cndmask_b32_e32 v12, v3, v11, vcc
.LBB22_7:                               ;   in Loop: Header=BB22_3 Depth=1
	s_or_b64 exec, exec, s[0:1]
	v_or_b32_e32 v3, s17, v13
	v_cmp_ne_u64_e32 vcc, 0, v[2:3]
                                        ; implicit-def: $vgpr10_vgpr11
	s_and_saveexec_b64 s[0:1], vcc
	s_xor_b64 s[10:11], exec, s[0:1]
	s_cbranch_execz .LBB22_9
; %bb.8:                                ;   in Loop: Header=BB22_3 Depth=1
	s_ashr_i32 s20, s17, 31
	s_add_u32 s0, s16, s20
	s_mov_b32 s21, s20
	s_addc_u32 s1, s17, s20
	s_xor_b64 s[22:23], s[0:1], s[20:21]
	v_cvt_f32_u32_e32 v3, s22
	v_cvt_f32_u32_e32 v10, s23
	s_sub_u32 s7, 0, s22
	s_subb_u32 s21, 0, s23
	v_mac_f32_e32 v3, 0x4f800000, v10
	v_rcp_f32_e32 v3, v3
	v_mul_f32_e32 v3, 0x5f7ffffc, v3
	v_mul_f32_e32 v10, 0x2f800000, v3
	v_trunc_f32_e32 v10, v10
	v_mac_f32_e32 v3, 0xcf800000, v10
	v_cvt_u32_f32_e32 v10, v10
	v_cvt_u32_f32_e32 v3, v3
	v_readfirstlane_b32 s28, v10
	v_readfirstlane_b32 s0, v3
	s_mul_i32 s1, s7, s28
	s_mul_hi_u32 s30, s7, s0
	s_mul_i32 s29, s21, s0
	s_add_i32 s1, s30, s1
	s_add_i32 s1, s1, s29
	s_mul_i32 s31, s7, s0
	s_mul_i32 s30, s0, s1
	s_mul_hi_u32 s33, s0, s31
	s_mul_hi_u32 s29, s0, s1
	s_add_u32 s30, s33, s30
	s_addc_u32 s29, 0, s29
	s_mul_hi_u32 s34, s28, s31
	s_mul_i32 s31, s28, s31
	s_add_u32 s30, s30, s31
	s_mul_hi_u32 s33, s28, s1
	s_addc_u32 s29, s29, s34
	s_addc_u32 s30, s33, 0
	s_mul_i32 s1, s28, s1
	s_add_u32 s1, s29, s1
	s_addc_u32 s29, 0, s30
	s_add_u32 s30, s0, s1
	s_cselect_b64 s[0:1], -1, 0
	s_cmp_lg_u64 s[0:1], 0
	s_addc_u32 s28, s28, s29
	s_mul_i32 s0, s7, s28
	s_mul_hi_u32 s1, s7, s30
	s_add_i32 s0, s1, s0
	s_mul_i32 s21, s21, s30
	s_add_i32 s0, s0, s21
	s_mul_i32 s7, s7, s30
	s_mul_hi_u32 s21, s28, s7
	s_mul_i32 s29, s28, s7
	s_mul_i32 s33, s30, s0
	s_mul_hi_u32 s7, s30, s7
	s_mul_hi_u32 s31, s30, s0
	s_add_u32 s7, s7, s33
	s_addc_u32 s31, 0, s31
	s_add_u32 s7, s7, s29
	s_mul_hi_u32 s1, s28, s0
	s_addc_u32 s7, s31, s21
	s_addc_u32 s1, s1, 0
	s_mul_i32 s0, s28, s0
	s_add_u32 s0, s7, s0
	s_addc_u32 s7, 0, s1
	s_add_u32 s21, s30, s0
	s_cselect_b64 s[0:1], -1, 0
	v_ashrrev_i32_e32 v3, 31, v13
	s_cmp_lg_u64 s[0:1], 0
	v_add_co_u32_e32 v10, vcc, v12, v3
	s_addc_u32 s7, s28, s7
	v_xor_b32_e32 v14, v10, v3
	v_addc_co_u32_e32 v12, vcc, v13, v3, vcc
	v_mad_u64_u32 v[10:11], s[0:1], v14, s7, 0
	v_mul_hi_u32 v13, v14, s21
	v_xor_b32_e32 v15, v12, v3
	v_xor_b32_e32 v3, s20, v3
	v_add_co_u32_e32 v16, vcc, v13, v10
	v_addc_co_u32_e32 v17, vcc, 0, v11, vcc
	v_mad_u64_u32 v[10:11], s[0:1], v15, s21, 0
	v_mad_u64_u32 v[12:13], s[0:1], v15, s7, 0
	v_add_co_u32_e32 v10, vcc, v16, v10
	v_addc_co_u32_e32 v10, vcc, v17, v11, vcc
	v_addc_co_u32_e32 v11, vcc, 0, v13, vcc
	v_add_co_u32_e32 v12, vcc, v10, v12
	v_addc_co_u32_e32 v13, vcc, 0, v11, vcc
	v_mul_lo_u32 v16, s23, v12
	v_mul_lo_u32 v17, s22, v13
	v_mad_u64_u32 v[10:11], s[0:1], s22, v12, 0
	v_add3_u32 v11, v11, v17, v16
	v_sub_u32_e32 v16, v15, v11
	v_mov_b32_e32 v17, s23
	v_sub_co_u32_e32 v10, vcc, v14, v10
	v_subb_co_u32_e64 v14, s[0:1], v16, v17, vcc
	v_subrev_co_u32_e64 v16, s[0:1], s22, v10
	v_subbrev_co_u32_e64 v14, s[0:1], 0, v14, s[0:1]
	v_cmp_le_u32_e64 s[0:1], s23, v14
	v_cndmask_b32_e64 v17, 0, -1, s[0:1]
	v_cmp_le_u32_e64 s[0:1], s22, v16
	v_cndmask_b32_e64 v16, 0, -1, s[0:1]
	v_cmp_eq_u32_e64 s[0:1], s23, v14
	v_cndmask_b32_e64 v14, v17, v16, s[0:1]
	v_add_co_u32_e64 v16, s[0:1], 2, v12
	v_subb_co_u32_e32 v11, vcc, v15, v11, vcc
	v_addc_co_u32_e64 v17, s[0:1], 0, v13, s[0:1]
	v_cmp_le_u32_e32 vcc, s23, v11
	v_add_co_u32_e64 v18, s[0:1], 1, v12
	v_cndmask_b32_e64 v15, 0, -1, vcc
	v_cmp_le_u32_e32 vcc, s22, v10
	v_addc_co_u32_e64 v19, s[0:1], 0, v13, s[0:1]
	v_cndmask_b32_e64 v10, 0, -1, vcc
	v_cmp_eq_u32_e32 vcc, s23, v11
	v_cmp_ne_u32_e64 s[0:1], 0, v14
	v_cndmask_b32_e32 v10, v15, v10, vcc
	v_cndmask_b32_e64 v14, v19, v17, s[0:1]
	v_cmp_ne_u32_e32 vcc, 0, v10
	v_cndmask_b32_e64 v11, v18, v16, s[0:1]
	v_cndmask_b32_e32 v10, v13, v14, vcc
	v_cndmask_b32_e32 v11, v12, v11, vcc
	v_xor_b32_e32 v12, v10, v3
	v_xor_b32_e32 v10, v11, v3
	v_sub_co_u32_e32 v10, vcc, v10, v3
	v_subb_co_u32_e32 v11, vcc, v12, v3, vcc
                                        ; implicit-def: $vgpr12_vgpr13
.LBB22_9:                               ;   in Loop: Header=BB22_3 Depth=1
	s_andn2_saveexec_b64 s[0:1], s[10:11]
	s_cbranch_execz .LBB22_11
; %bb.10:                               ;   in Loop: Header=BB22_3 Depth=1
	v_cvt_f32_u32_e32 v3, s16
	s_sub_i32 s7, 0, s16
	v_rcp_iflag_f32_e32 v3, v3
	v_mul_f32_e32 v3, 0x4f7ffffe, v3
	v_cvt_u32_f32_e32 v3, v3
	v_mul_lo_u32 v10, s7, v3
	v_mul_hi_u32 v10, v3, v10
	v_add_u32_e32 v3, v3, v10
	v_mul_hi_u32 v3, v12, v3
	v_mul_lo_u32 v10, v3, s16
	v_add_u32_e32 v11, 1, v3
	v_sub_u32_e32 v10, v12, v10
	v_subrev_u32_e32 v12, s16, v10
	v_cmp_le_u32_e32 vcc, s16, v10
	v_cndmask_b32_e32 v10, v10, v12, vcc
	v_cndmask_b32_e32 v3, v3, v11, vcc
	v_add_u32_e32 v11, 1, v3
	v_cmp_le_u32_e32 vcc, s16, v10
	v_cndmask_b32_e32 v10, v3, v11, vcc
	v_mov_b32_e32 v11, v2
.LBB22_11:                              ;   in Loop: Header=BB22_3 Depth=1
	s_or_b64 exec, exec, s[0:1]
	v_or_b32_e32 v3, s15, v11
	v_cmp_ne_u64_e32 vcc, 0, v[2:3]
                                        ; implicit-def: $vgpr12_vgpr13
	s_and_saveexec_b64 s[0:1], vcc
	s_xor_b64 s[10:11], exec, s[0:1]
	s_cbranch_execz .LBB22_13
; %bb.12:                               ;   in Loop: Header=BB22_3 Depth=1
	s_ashr_i32 s20, s15, 31
	s_add_u32 s0, s14, s20
	s_mov_b32 s21, s20
	s_addc_u32 s1, s15, s20
	s_xor_b64 s[22:23], s[0:1], s[20:21]
	v_cvt_f32_u32_e32 v3, s22
	v_cvt_f32_u32_e32 v12, s23
	s_sub_u32 s7, 0, s22
	s_subb_u32 s21, 0, s23
	v_mac_f32_e32 v3, 0x4f800000, v12
	v_rcp_f32_e32 v3, v3
	v_mul_f32_e32 v3, 0x5f7ffffc, v3
	v_mul_f32_e32 v12, 0x2f800000, v3
	v_trunc_f32_e32 v12, v12
	v_mac_f32_e32 v3, 0xcf800000, v12
	v_cvt_u32_f32_e32 v12, v12
	v_cvt_u32_f32_e32 v3, v3
	v_readfirstlane_b32 s28, v12
	v_readfirstlane_b32 s0, v3
	s_mul_i32 s1, s7, s28
	s_mul_hi_u32 s30, s7, s0
	s_mul_i32 s29, s21, s0
	s_add_i32 s1, s30, s1
	s_add_i32 s1, s1, s29
	s_mul_i32 s31, s7, s0
	s_mul_i32 s30, s0, s1
	s_mul_hi_u32 s33, s0, s31
	s_mul_hi_u32 s29, s0, s1
	s_add_u32 s30, s33, s30
	s_addc_u32 s29, 0, s29
	s_mul_hi_u32 s34, s28, s31
	s_mul_i32 s31, s28, s31
	s_add_u32 s30, s30, s31
	s_mul_hi_u32 s33, s28, s1
	s_addc_u32 s29, s29, s34
	s_addc_u32 s30, s33, 0
	s_mul_i32 s1, s28, s1
	s_add_u32 s1, s29, s1
	s_addc_u32 s29, 0, s30
	s_add_u32 s30, s0, s1
	s_cselect_b64 s[0:1], -1, 0
	s_cmp_lg_u64 s[0:1], 0
	s_addc_u32 s28, s28, s29
	s_mul_i32 s0, s7, s28
	s_mul_hi_u32 s1, s7, s30
	s_add_i32 s0, s1, s0
	s_mul_i32 s21, s21, s30
	s_add_i32 s0, s0, s21
	s_mul_i32 s7, s7, s30
	s_mul_hi_u32 s21, s28, s7
	s_mul_i32 s29, s28, s7
	s_mul_i32 s33, s30, s0
	s_mul_hi_u32 s7, s30, s7
	s_mul_hi_u32 s31, s30, s0
	s_add_u32 s7, s7, s33
	s_addc_u32 s31, 0, s31
	s_add_u32 s7, s7, s29
	s_mul_hi_u32 s1, s28, s0
	s_addc_u32 s7, s31, s21
	s_addc_u32 s1, s1, 0
	s_mul_i32 s0, s28, s0
	s_add_u32 s0, s7, s0
	s_addc_u32 s7, 0, s1
	s_add_u32 s21, s30, s0
	s_cselect_b64 s[0:1], -1, 0
	v_ashrrev_i32_e32 v3, 31, v11
	s_cmp_lg_u64 s[0:1], 0
	v_add_co_u32_e32 v12, vcc, v10, v3
	s_addc_u32 s7, s28, s7
	v_xor_b32_e32 v15, v12, v3
	v_addc_co_u32_e32 v13, vcc, v11, v3, vcc
	v_mad_u64_u32 v[11:12], s[0:1], v15, s7, 0
	v_mul_hi_u32 v14, v15, s21
	v_xor_b32_e32 v16, v13, v3
	v_xor_b32_e32 v3, s20, v3
	v_add_co_u32_e32 v17, vcc, v14, v11
	v_addc_co_u32_e32 v18, vcc, 0, v12, vcc
	v_mad_u64_u32 v[11:12], s[0:1], v16, s21, 0
	v_mad_u64_u32 v[13:14], s[0:1], v16, s7, 0
	v_add_co_u32_e32 v11, vcc, v17, v11
	v_addc_co_u32_e32 v11, vcc, v18, v12, vcc
	v_addc_co_u32_e32 v12, vcc, 0, v14, vcc
	v_add_co_u32_e32 v13, vcc, v11, v13
	v_addc_co_u32_e32 v11, vcc, 0, v12, vcc
	v_mul_lo_u32 v14, s23, v13
	v_mul_lo_u32 v17, s22, v11
	v_mad_u64_u32 v[11:12], s[0:1], s22, v13, 0
	v_add3_u32 v12, v12, v17, v14
	v_sub_u32_e32 v14, v16, v12
	v_mov_b32_e32 v17, s23
	v_sub_co_u32_e32 v11, vcc, v15, v11
	v_subb_co_u32_e64 v14, s[0:1], v14, v17, vcc
	v_subrev_co_u32_e64 v15, s[0:1], s22, v11
	v_subbrev_co_u32_e64 v14, s[0:1], 0, v14, s[0:1]
	v_cmp_le_u32_e64 s[0:1], s23, v14
	v_subb_co_u32_e32 v12, vcc, v16, v12, vcc
	v_cndmask_b32_e64 v17, 0, -1, s[0:1]
	v_cmp_le_u32_e64 s[0:1], s22, v15
	v_cmp_le_u32_e32 vcc, s23, v12
	v_cndmask_b32_e64 v15, 0, -1, s[0:1]
	v_cmp_eq_u32_e64 s[0:1], s23, v14
	v_cndmask_b32_e64 v16, 0, -1, vcc
	v_cmp_le_u32_e32 vcc, s22, v11
	v_cndmask_b32_e64 v14, v17, v15, s[0:1]
	v_cndmask_b32_e64 v11, 0, -1, vcc
	v_cmp_eq_u32_e32 vcc, s23, v12
	v_add_co_u32_e64 v15, s[0:1], 2, v13
	v_add_co_u32_e64 v17, s[0:1], 1, v13
	v_cndmask_b32_e32 v11, v16, v11, vcc
	v_cmp_ne_u32_e32 vcc, 0, v14
	v_cndmask_b32_e32 v12, v17, v15, vcc
	v_cmp_ne_u32_e32 vcc, 0, v11
	v_cndmask_b32_e32 v11, v13, v12, vcc
	v_xor_b32_e32 v11, v11, v3
	v_sub_co_u32_e32 v12, vcc, v11, v3
.LBB22_13:                              ;   in Loop: Header=BB22_3 Depth=1
	s_andn2_saveexec_b64 s[0:1], s[10:11]
	s_cbranch_execz .LBB22_2
; %bb.14:                               ;   in Loop: Header=BB22_3 Depth=1
	v_cvt_f32_u32_e32 v3, s14
	s_sub_i32 s7, 0, s14
	v_rcp_iflag_f32_e32 v3, v3
	v_mul_f32_e32 v3, 0x4f7ffffe, v3
	v_cvt_u32_f32_e32 v3, v3
	v_mul_lo_u32 v11, s7, v3
	v_mul_hi_u32 v11, v3, v11
	v_add_u32_e32 v3, v3, v11
	v_mul_hi_u32 v3, v10, v3
	v_mul_lo_u32 v11, v3, s14
	v_add_u32_e32 v12, 1, v3
	v_sub_u32_e32 v11, v10, v11
	v_subrev_u32_e32 v13, s14, v11
	v_cmp_le_u32_e32 vcc, s14, v11
	v_cndmask_b32_e32 v11, v11, v13, vcc
	v_cndmask_b32_e32 v3, v3, v12, vcc
	v_add_u32_e32 v12, 1, v3
	v_cmp_le_u32_e32 vcc, s14, v11
	v_cndmask_b32_e32 v12, v3, v12, vcc
	s_branch .LBB22_2
.LBB22_15:
	s_endpgm
	.section	.rodata,"a",@progbits
	.p2align	6, 0x0
	.amdhsa_kernel _ZN2at6native31max_unpooling2d_backward_kernelIsEEvlPKT_PKllllllPS2_
		.amdhsa_group_segment_fixed_size 0
		.amdhsa_private_segment_fixed_size 0
		.amdhsa_kernarg_size 328
		.amdhsa_user_sgpr_count 6
		.amdhsa_user_sgpr_private_segment_buffer 1
		.amdhsa_user_sgpr_dispatch_ptr 0
		.amdhsa_user_sgpr_queue_ptr 0
		.amdhsa_user_sgpr_kernarg_segment_ptr 1
		.amdhsa_user_sgpr_dispatch_id 0
		.amdhsa_user_sgpr_flat_scratch_init 0
		.amdhsa_user_sgpr_private_segment_size 0
		.amdhsa_uses_dynamic_stack 0
		.amdhsa_system_sgpr_private_segment_wavefront_offset 0
		.amdhsa_system_sgpr_workgroup_id_x 1
		.amdhsa_system_sgpr_workgroup_id_y 0
		.amdhsa_system_sgpr_workgroup_id_z 0
		.amdhsa_system_sgpr_workgroup_info 0
		.amdhsa_system_vgpr_workitem_id 0
		.amdhsa_next_free_vgpr 20
		.amdhsa_next_free_sgpr 35
		.amdhsa_reserve_vcc 1
		.amdhsa_reserve_flat_scratch 0
		.amdhsa_float_round_mode_32 0
		.amdhsa_float_round_mode_16_64 0
		.amdhsa_float_denorm_mode_32 3
		.amdhsa_float_denorm_mode_16_64 3
		.amdhsa_dx10_clamp 1
		.amdhsa_ieee_mode 1
		.amdhsa_fp16_overflow 0
		.amdhsa_exception_fp_ieee_invalid_op 0
		.amdhsa_exception_fp_denorm_src 0
		.amdhsa_exception_fp_ieee_div_zero 0
		.amdhsa_exception_fp_ieee_overflow 0
		.amdhsa_exception_fp_ieee_underflow 0
		.amdhsa_exception_fp_ieee_inexact 0
		.amdhsa_exception_int_div_zero 0
	.end_amdhsa_kernel
	.section	.text._ZN2at6native31max_unpooling2d_backward_kernelIsEEvlPKT_PKllllllPS2_,"axG",@progbits,_ZN2at6native31max_unpooling2d_backward_kernelIsEEvlPKT_PKllllllPS2_,comdat
.Lfunc_end22:
	.size	_ZN2at6native31max_unpooling2d_backward_kernelIsEEvlPKT_PKllllllPS2_, .Lfunc_end22-_ZN2at6native31max_unpooling2d_backward_kernelIsEEvlPKT_PKllllllPS2_
                                        ; -- End function
	.set _ZN2at6native31max_unpooling2d_backward_kernelIsEEvlPKT_PKllllllPS2_.num_vgpr, 20
	.set _ZN2at6native31max_unpooling2d_backward_kernelIsEEvlPKT_PKllllllPS2_.num_agpr, 0
	.set _ZN2at6native31max_unpooling2d_backward_kernelIsEEvlPKT_PKllllllPS2_.numbered_sgpr, 35
	.set _ZN2at6native31max_unpooling2d_backward_kernelIsEEvlPKT_PKllllllPS2_.num_named_barrier, 0
	.set _ZN2at6native31max_unpooling2d_backward_kernelIsEEvlPKT_PKllllllPS2_.private_seg_size, 0
	.set _ZN2at6native31max_unpooling2d_backward_kernelIsEEvlPKT_PKllllllPS2_.uses_vcc, 1
	.set _ZN2at6native31max_unpooling2d_backward_kernelIsEEvlPKT_PKllllllPS2_.uses_flat_scratch, 0
	.set _ZN2at6native31max_unpooling2d_backward_kernelIsEEvlPKT_PKllllllPS2_.has_dyn_sized_stack, 0
	.set _ZN2at6native31max_unpooling2d_backward_kernelIsEEvlPKT_PKllllllPS2_.has_recursion, 0
	.set _ZN2at6native31max_unpooling2d_backward_kernelIsEEvlPKT_PKllllllPS2_.has_indirect_call, 0
	.section	.AMDGPU.csdata,"",@progbits
; Kernel info:
; codeLenInByte = 2560
; TotalNumSgprs: 39
; NumVgprs: 20
; ScratchSize: 0
; MemoryBound: 0
; FloatMode: 240
; IeeeMode: 1
; LDSByteSize: 0 bytes/workgroup (compile time only)
; SGPRBlocks: 4
; VGPRBlocks: 4
; NumSGPRsForWavesPerEU: 39
; NumVGPRsForWavesPerEU: 20
; Occupancy: 10
; WaveLimiterHint : 1
; COMPUTE_PGM_RSRC2:SCRATCH_EN: 0
; COMPUTE_PGM_RSRC2:USER_SGPR: 6
; COMPUTE_PGM_RSRC2:TRAP_HANDLER: 0
; COMPUTE_PGM_RSRC2:TGID_X_EN: 1
; COMPUTE_PGM_RSRC2:TGID_Y_EN: 0
; COMPUTE_PGM_RSRC2:TGID_Z_EN: 0
; COMPUTE_PGM_RSRC2:TIDIG_COMP_CNT: 0
	.section	.text._ZN2at6native31max_unpooling2d_backward_kernelIdEEvlPKT_PKllllllPS2_,"axG",@progbits,_ZN2at6native31max_unpooling2d_backward_kernelIdEEvlPKT_PKllllllPS2_,comdat
	.protected	_ZN2at6native31max_unpooling2d_backward_kernelIdEEvlPKT_PKllllllPS2_ ; -- Begin function _ZN2at6native31max_unpooling2d_backward_kernelIdEEvlPKT_PKllllllPS2_
	.globl	_ZN2at6native31max_unpooling2d_backward_kernelIdEEvlPKT_PKllllllPS2_
	.p2align	8
	.type	_ZN2at6native31max_unpooling2d_backward_kernelIdEEvlPKT_PKllllllPS2_,@function
_ZN2at6native31max_unpooling2d_backward_kernelIdEEvlPKT_PKllllllPS2_: ; @_ZN2at6native31max_unpooling2d_backward_kernelIdEEvlPKT_PKllllllPS2_
; %bb.0:
	s_load_dword s2, s[4:5], 0x54
	s_load_dwordx16 s[8:23], s[4:5], 0x0
	s_add_u32 s0, s4, 0x48
	v_mov_b32_e32 v2, 0
	s_addc_u32 s1, s5, 0
	s_waitcnt lgkmcnt(0)
	s_and_b32 s7, s2, 0xffff
	v_mov_b32_e32 v1, v2
	v_mov_b32_e32 v3, s6
	v_mad_u64_u32 v[0:1], s[2:3], s7, v3, v[0:1]
	v_cmp_gt_i64_e32 vcc, s[8:9], v[0:1]
	s_and_saveexec_b64 s[2:3], vcc
	s_cbranch_execz .LBB23_15
; %bb.1:
	s_load_dwordx2 s[2:3], s[4:5], 0x40
	s_load_dword s6, s[0:1], 0x0
	s_mul_i32 s0, s22, s21
	s_mul_hi_u32 s1, s22, s20
	v_mov_b32_e32 v3, v0
	s_add_i32 s0, s1, s0
	s_mul_i32 s1, s23, s20
	s_waitcnt lgkmcnt(0)
	s_mul_i32 s26, s6, s7
	v_mov_b32_e32 v4, s10
	v_mov_b32_e32 v7, v3
	s_add_i32 s24, s0, s1
	s_mul_i32 s25, s22, s20
	s_mov_b32 s27, s26
	s_mov_b64 s[4:5], 0
	v_mov_b32_e32 v5, s11
	s_ashr_i32 s6, s19, 31
	v_mov_b32_e32 v6, v2
	s_branch .LBB23_3
.LBB23_2:                               ;   in Loop: Header=BB23_3 Depth=1
	s_or_b64 exec, exec, s[0:1]
	v_lshlrev_b64 v[8:9], 3, v[8:9]
	v_mov_b32_e32 v3, s13
	v_add_co_u32_e32 v13, vcc, s12, v8
	v_addc_co_u32_e32 v14, vcc, v3, v9, vcc
	global_load_dword v3, v[13:14], off
	v_mul_lo_u32 v11, v12, s14
	v_ashrrev_i32_e32 v13, 31, v12
	v_mul_lo_u32 v14, v12, s15
	v_mul_lo_u32 v13, v13, s14
	v_sub_u32_e32 v10, v10, v11
	v_ashrrev_i32_e32 v11, 31, v10
	v_mad_u64_u32 v[10:11], s[0:1], v12, s14, v[10:11]
	v_add3_u32 v12, v13, v11, v14
	v_mul_lo_u32 v13, s24, v10
	v_mad_u64_u32 v[10:11], s[0:1], s25, v10, 0
	v_mul_lo_u32 v12, s25, v12
	v_add_co_u32_e64 v8, s[0:1], s2, v8
	v_add3_u32 v11, v11, v12, v13
	v_lshlrev_b64 v[10:11], 3, v[10:11]
	v_mov_b32_e32 v12, s27
	v_add_co_u32_e32 v4, vcc, v4, v10
	v_addc_co_u32_e32 v5, vcc, v5, v11, vcc
	s_waitcnt vmcnt(0)
	v_ashrrev_i64 v[10:11], 29, v[2:3]
	v_mov_b32_e32 v3, s3
	v_add_co_u32_e32 v10, vcc, v4, v10
	v_addc_co_u32_e32 v11, vcc, v5, v11, vcc
	global_load_dwordx2 v[10:11], v[10:11], off
	v_add_co_u32_e32 v0, vcc, s26, v0
	v_addc_co_u32_e32 v1, vcc, 0, v1, vcc
	v_cmp_le_i64_e32 vcc, s[8:9], v[0:1]
	v_addc_co_u32_e64 v9, s[0:1], v3, v9, s[0:1]
	s_or_b64 s[4:5], vcc, s[4:5]
	v_add_co_u32_e32 v6, vcc, 0, v6
	v_addc_co_u32_e32 v7, vcc, v7, v12, vcc
	s_waitcnt vmcnt(0)
	global_store_dwordx2 v[8:9], v[10:11], off
	s_andn2_b64 exec, exec, s[4:5]
	s_cbranch_execz .LBB23_15
.LBB23_3:                               ; =>This Inner Loop Header: Depth=1
	v_ashrrev_i32_e32 v9, 31, v7
	v_or_b32_e32 v3, s19, v9
	v_cmp_ne_u64_e32 vcc, 0, v[2:3]
	v_mov_b32_e32 v8, v7
                                        ; implicit-def: $vgpr12_vgpr13
	s_and_saveexec_b64 s[0:1], vcc
	s_xor_b64 s[10:11], exec, s[0:1]
	s_cbranch_execz .LBB23_5
; %bb.4:                                ;   in Loop: Header=BB23_3 Depth=1
	s_add_u32 s0, s18, s6
	s_mov_b32 s7, s6
	s_addc_u32 s1, s19, s6
	s_xor_b64 s[20:21], s[0:1], s[6:7]
	v_cvt_f32_u32_e32 v3, s20
	v_cvt_f32_u32_e32 v10, s21
	s_sub_u32 s7, 0, s20
	s_subb_u32 s22, 0, s21
	v_mac_f32_e32 v3, 0x4f800000, v10
	v_rcp_f32_e32 v3, v3
	v_mul_f32_e32 v3, 0x5f7ffffc, v3
	v_mul_f32_e32 v10, 0x2f800000, v3
	v_trunc_f32_e32 v10, v10
	v_mac_f32_e32 v3, 0xcf800000, v10
	v_cvt_u32_f32_e32 v10, v10
	v_cvt_u32_f32_e32 v3, v3
	v_readfirstlane_b32 s23, v10
	v_readfirstlane_b32 s0, v3
	s_mul_i32 s1, s7, s23
	s_mul_hi_u32 s29, s7, s0
	s_mul_i32 s28, s22, s0
	s_add_i32 s1, s29, s1
	s_add_i32 s1, s1, s28
	s_mul_i32 s30, s7, s0
	s_mul_i32 s29, s0, s1
	s_mul_hi_u32 s31, s0, s30
	s_mul_hi_u32 s28, s0, s1
	s_add_u32 s29, s31, s29
	s_addc_u32 s28, 0, s28
	s_mul_hi_u32 s33, s23, s30
	s_mul_i32 s30, s23, s30
	s_add_u32 s29, s29, s30
	s_mul_hi_u32 s31, s23, s1
	s_addc_u32 s28, s28, s33
	s_addc_u32 s29, s31, 0
	s_mul_i32 s1, s23, s1
	s_add_u32 s1, s28, s1
	s_addc_u32 s28, 0, s29
	s_add_u32 s29, s0, s1
	s_cselect_b64 s[0:1], -1, 0
	s_cmp_lg_u64 s[0:1], 0
	s_addc_u32 s23, s23, s28
	s_mul_i32 s0, s7, s23
	s_mul_hi_u32 s1, s7, s29
	s_add_i32 s0, s1, s0
	s_mul_i32 s22, s22, s29
	s_add_i32 s0, s0, s22
	s_mul_i32 s7, s7, s29
	s_mul_hi_u32 s22, s23, s7
	s_mul_i32 s28, s23, s7
	s_mul_i32 s31, s29, s0
	s_mul_hi_u32 s7, s29, s7
	s_mul_hi_u32 s30, s29, s0
	s_add_u32 s7, s7, s31
	s_addc_u32 s30, 0, s30
	s_add_u32 s7, s7, s28
	s_mul_hi_u32 s1, s23, s0
	s_addc_u32 s7, s30, s22
	s_addc_u32 s1, s1, 0
	s_mul_i32 s0, s23, s0
	s_add_u32 s0, s7, s0
	s_addc_u32 s7, 0, s1
	s_add_u32 s22, s29, s0
	s_cselect_b64 s[0:1], -1, 0
	v_ashrrev_i32_e32 v3, 31, v9
	s_cmp_lg_u64 s[0:1], 0
	v_add_co_u32_e32 v10, vcc, v8, v3
	s_addc_u32 s7, s23, s7
	v_xor_b32_e32 v14, v10, v3
	v_mad_u64_u32 v[10:11], s[0:1], v14, s7, 0
	v_mul_hi_u32 v13, v14, s22
	v_addc_co_u32_e32 v12, vcc, v9, v3, vcc
	v_xor_b32_e32 v15, v12, v3
	v_add_co_u32_e32 v16, vcc, v13, v10
	v_addc_co_u32_e32 v17, vcc, 0, v11, vcc
	v_mad_u64_u32 v[10:11], s[0:1], v15, s22, 0
	v_mad_u64_u32 v[12:13], s[0:1], v15, s7, 0
	v_add_co_u32_e32 v10, vcc, v16, v10
	v_addc_co_u32_e32 v10, vcc, v17, v11, vcc
	v_addc_co_u32_e32 v11, vcc, 0, v13, vcc
	v_add_co_u32_e32 v12, vcc, v10, v12
	v_addc_co_u32_e32 v13, vcc, 0, v11, vcc
	v_mul_lo_u32 v16, s21, v12
	v_mul_lo_u32 v17, s20, v13
	v_mad_u64_u32 v[10:11], s[0:1], s20, v12, 0
	v_xor_b32_e32 v3, s6, v3
	v_add3_u32 v11, v11, v17, v16
	v_sub_u32_e32 v16, v15, v11
	v_mov_b32_e32 v17, s21
	v_sub_co_u32_e32 v10, vcc, v14, v10
	v_subb_co_u32_e64 v14, s[0:1], v16, v17, vcc
	v_subrev_co_u32_e64 v16, s[0:1], s20, v10
	v_subbrev_co_u32_e64 v14, s[0:1], 0, v14, s[0:1]
	v_cmp_le_u32_e64 s[0:1], s21, v14
	v_cndmask_b32_e64 v17, 0, -1, s[0:1]
	v_cmp_le_u32_e64 s[0:1], s20, v16
	v_cndmask_b32_e64 v16, 0, -1, s[0:1]
	v_cmp_eq_u32_e64 s[0:1], s21, v14
	v_cndmask_b32_e64 v14, v17, v16, s[0:1]
	v_add_co_u32_e64 v16, s[0:1], 2, v12
	v_subb_co_u32_e32 v11, vcc, v15, v11, vcc
	v_addc_co_u32_e64 v17, s[0:1], 0, v13, s[0:1]
	v_cmp_le_u32_e32 vcc, s21, v11
	v_add_co_u32_e64 v18, s[0:1], 1, v12
	v_cndmask_b32_e64 v15, 0, -1, vcc
	v_cmp_le_u32_e32 vcc, s20, v10
	v_addc_co_u32_e64 v19, s[0:1], 0, v13, s[0:1]
	v_cndmask_b32_e64 v10, 0, -1, vcc
	v_cmp_eq_u32_e32 vcc, s21, v11
	v_cmp_ne_u32_e64 s[0:1], 0, v14
	v_cndmask_b32_e32 v10, v15, v10, vcc
	v_cmp_ne_u32_e32 vcc, 0, v10
	v_cndmask_b32_e64 v11, v18, v16, s[0:1]
	v_cndmask_b32_e64 v14, v19, v17, s[0:1]
	v_cndmask_b32_e32 v11, v12, v11, vcc
	v_cndmask_b32_e32 v10, v13, v14, vcc
	v_xor_b32_e32 v11, v11, v3
	v_xor_b32_e32 v10, v10, v3
	v_sub_co_u32_e32 v12, vcc, v11, v3
	v_subb_co_u32_e32 v13, vcc, v10, v3, vcc
.LBB23_5:                               ;   in Loop: Header=BB23_3 Depth=1
	s_andn2_saveexec_b64 s[0:1], s[10:11]
	s_cbranch_execz .LBB23_7
; %bb.6:                                ;   in Loop: Header=BB23_3 Depth=1
	v_cvt_f32_u32_e32 v3, s18
	s_sub_i32 s7, 0, s18
	v_mov_b32_e32 v13, v2
	v_rcp_iflag_f32_e32 v3, v3
	v_mul_f32_e32 v3, 0x4f7ffffe, v3
	v_cvt_u32_f32_e32 v3, v3
	v_mul_lo_u32 v10, s7, v3
	v_mul_hi_u32 v10, v3, v10
	v_add_u32_e32 v3, v3, v10
	v_mul_hi_u32 v3, v7, v3
	v_mul_lo_u32 v10, v3, s18
	v_add_u32_e32 v11, 1, v3
	v_sub_u32_e32 v10, v7, v10
	v_subrev_u32_e32 v12, s18, v10
	v_cmp_le_u32_e32 vcc, s18, v10
	v_cndmask_b32_e32 v10, v10, v12, vcc
	v_cndmask_b32_e32 v3, v3, v11, vcc
	v_add_u32_e32 v11, 1, v3
	v_cmp_le_u32_e32 vcc, s18, v10
	v_cndmask_b32_e32 v12, v3, v11, vcc
.LBB23_7:                               ;   in Loop: Header=BB23_3 Depth=1
	s_or_b64 exec, exec, s[0:1]
	v_or_b32_e32 v3, s17, v13
	v_cmp_ne_u64_e32 vcc, 0, v[2:3]
                                        ; implicit-def: $vgpr10_vgpr11
	s_and_saveexec_b64 s[0:1], vcc
	s_xor_b64 s[10:11], exec, s[0:1]
	s_cbranch_execz .LBB23_9
; %bb.8:                                ;   in Loop: Header=BB23_3 Depth=1
	s_ashr_i32 s20, s17, 31
	s_add_u32 s0, s16, s20
	s_mov_b32 s21, s20
	s_addc_u32 s1, s17, s20
	s_xor_b64 s[22:23], s[0:1], s[20:21]
	v_cvt_f32_u32_e32 v3, s22
	v_cvt_f32_u32_e32 v10, s23
	s_sub_u32 s7, 0, s22
	s_subb_u32 s21, 0, s23
	v_mac_f32_e32 v3, 0x4f800000, v10
	v_rcp_f32_e32 v3, v3
	v_mul_f32_e32 v3, 0x5f7ffffc, v3
	v_mul_f32_e32 v10, 0x2f800000, v3
	v_trunc_f32_e32 v10, v10
	v_mac_f32_e32 v3, 0xcf800000, v10
	v_cvt_u32_f32_e32 v10, v10
	v_cvt_u32_f32_e32 v3, v3
	v_readfirstlane_b32 s28, v10
	v_readfirstlane_b32 s0, v3
	s_mul_i32 s1, s7, s28
	s_mul_hi_u32 s30, s7, s0
	s_mul_i32 s29, s21, s0
	s_add_i32 s1, s30, s1
	s_add_i32 s1, s1, s29
	s_mul_i32 s31, s7, s0
	s_mul_i32 s30, s0, s1
	s_mul_hi_u32 s33, s0, s31
	s_mul_hi_u32 s29, s0, s1
	s_add_u32 s30, s33, s30
	s_addc_u32 s29, 0, s29
	s_mul_hi_u32 s34, s28, s31
	s_mul_i32 s31, s28, s31
	s_add_u32 s30, s30, s31
	s_mul_hi_u32 s33, s28, s1
	s_addc_u32 s29, s29, s34
	s_addc_u32 s30, s33, 0
	s_mul_i32 s1, s28, s1
	s_add_u32 s1, s29, s1
	s_addc_u32 s29, 0, s30
	s_add_u32 s30, s0, s1
	s_cselect_b64 s[0:1], -1, 0
	s_cmp_lg_u64 s[0:1], 0
	s_addc_u32 s28, s28, s29
	s_mul_i32 s0, s7, s28
	s_mul_hi_u32 s1, s7, s30
	s_add_i32 s0, s1, s0
	s_mul_i32 s21, s21, s30
	s_add_i32 s0, s0, s21
	s_mul_i32 s7, s7, s30
	s_mul_hi_u32 s21, s28, s7
	s_mul_i32 s29, s28, s7
	s_mul_i32 s33, s30, s0
	s_mul_hi_u32 s7, s30, s7
	s_mul_hi_u32 s31, s30, s0
	s_add_u32 s7, s7, s33
	s_addc_u32 s31, 0, s31
	s_add_u32 s7, s7, s29
	s_mul_hi_u32 s1, s28, s0
	s_addc_u32 s7, s31, s21
	s_addc_u32 s1, s1, 0
	s_mul_i32 s0, s28, s0
	s_add_u32 s0, s7, s0
	s_addc_u32 s7, 0, s1
	s_add_u32 s21, s30, s0
	s_cselect_b64 s[0:1], -1, 0
	v_ashrrev_i32_e32 v3, 31, v13
	s_cmp_lg_u64 s[0:1], 0
	v_add_co_u32_e32 v10, vcc, v12, v3
	s_addc_u32 s7, s28, s7
	v_xor_b32_e32 v14, v10, v3
	v_addc_co_u32_e32 v12, vcc, v13, v3, vcc
	v_mad_u64_u32 v[10:11], s[0:1], v14, s7, 0
	v_mul_hi_u32 v13, v14, s21
	v_xor_b32_e32 v15, v12, v3
	v_xor_b32_e32 v3, s20, v3
	v_add_co_u32_e32 v16, vcc, v13, v10
	v_addc_co_u32_e32 v17, vcc, 0, v11, vcc
	v_mad_u64_u32 v[10:11], s[0:1], v15, s21, 0
	v_mad_u64_u32 v[12:13], s[0:1], v15, s7, 0
	v_add_co_u32_e32 v10, vcc, v16, v10
	v_addc_co_u32_e32 v10, vcc, v17, v11, vcc
	v_addc_co_u32_e32 v11, vcc, 0, v13, vcc
	v_add_co_u32_e32 v12, vcc, v10, v12
	v_addc_co_u32_e32 v13, vcc, 0, v11, vcc
	v_mul_lo_u32 v16, s23, v12
	v_mul_lo_u32 v17, s22, v13
	v_mad_u64_u32 v[10:11], s[0:1], s22, v12, 0
	v_add3_u32 v11, v11, v17, v16
	v_sub_u32_e32 v16, v15, v11
	v_mov_b32_e32 v17, s23
	v_sub_co_u32_e32 v10, vcc, v14, v10
	v_subb_co_u32_e64 v14, s[0:1], v16, v17, vcc
	v_subrev_co_u32_e64 v16, s[0:1], s22, v10
	v_subbrev_co_u32_e64 v14, s[0:1], 0, v14, s[0:1]
	v_cmp_le_u32_e64 s[0:1], s23, v14
	v_cndmask_b32_e64 v17, 0, -1, s[0:1]
	v_cmp_le_u32_e64 s[0:1], s22, v16
	v_cndmask_b32_e64 v16, 0, -1, s[0:1]
	v_cmp_eq_u32_e64 s[0:1], s23, v14
	v_cndmask_b32_e64 v14, v17, v16, s[0:1]
	v_add_co_u32_e64 v16, s[0:1], 2, v12
	v_subb_co_u32_e32 v11, vcc, v15, v11, vcc
	v_addc_co_u32_e64 v17, s[0:1], 0, v13, s[0:1]
	v_cmp_le_u32_e32 vcc, s23, v11
	v_add_co_u32_e64 v18, s[0:1], 1, v12
	v_cndmask_b32_e64 v15, 0, -1, vcc
	v_cmp_le_u32_e32 vcc, s22, v10
	v_addc_co_u32_e64 v19, s[0:1], 0, v13, s[0:1]
	v_cndmask_b32_e64 v10, 0, -1, vcc
	v_cmp_eq_u32_e32 vcc, s23, v11
	v_cmp_ne_u32_e64 s[0:1], 0, v14
	v_cndmask_b32_e32 v10, v15, v10, vcc
	v_cndmask_b32_e64 v14, v19, v17, s[0:1]
	v_cmp_ne_u32_e32 vcc, 0, v10
	v_cndmask_b32_e64 v11, v18, v16, s[0:1]
	v_cndmask_b32_e32 v10, v13, v14, vcc
	v_cndmask_b32_e32 v11, v12, v11, vcc
	v_xor_b32_e32 v12, v10, v3
	v_xor_b32_e32 v10, v11, v3
	v_sub_co_u32_e32 v10, vcc, v10, v3
	v_subb_co_u32_e32 v11, vcc, v12, v3, vcc
                                        ; implicit-def: $vgpr12_vgpr13
.LBB23_9:                               ;   in Loop: Header=BB23_3 Depth=1
	s_andn2_saveexec_b64 s[0:1], s[10:11]
	s_cbranch_execz .LBB23_11
; %bb.10:                               ;   in Loop: Header=BB23_3 Depth=1
	v_cvt_f32_u32_e32 v3, s16
	s_sub_i32 s7, 0, s16
	v_rcp_iflag_f32_e32 v3, v3
	v_mul_f32_e32 v3, 0x4f7ffffe, v3
	v_cvt_u32_f32_e32 v3, v3
	v_mul_lo_u32 v10, s7, v3
	v_mul_hi_u32 v10, v3, v10
	v_add_u32_e32 v3, v3, v10
	v_mul_hi_u32 v3, v12, v3
	v_mul_lo_u32 v10, v3, s16
	v_add_u32_e32 v11, 1, v3
	v_sub_u32_e32 v10, v12, v10
	v_subrev_u32_e32 v12, s16, v10
	v_cmp_le_u32_e32 vcc, s16, v10
	v_cndmask_b32_e32 v10, v10, v12, vcc
	v_cndmask_b32_e32 v3, v3, v11, vcc
	v_add_u32_e32 v11, 1, v3
	v_cmp_le_u32_e32 vcc, s16, v10
	v_cndmask_b32_e32 v10, v3, v11, vcc
	v_mov_b32_e32 v11, v2
.LBB23_11:                              ;   in Loop: Header=BB23_3 Depth=1
	s_or_b64 exec, exec, s[0:1]
	v_or_b32_e32 v3, s15, v11
	v_cmp_ne_u64_e32 vcc, 0, v[2:3]
                                        ; implicit-def: $vgpr12_vgpr13
	s_and_saveexec_b64 s[0:1], vcc
	s_xor_b64 s[10:11], exec, s[0:1]
	s_cbranch_execz .LBB23_13
; %bb.12:                               ;   in Loop: Header=BB23_3 Depth=1
	s_ashr_i32 s20, s15, 31
	s_add_u32 s0, s14, s20
	s_mov_b32 s21, s20
	s_addc_u32 s1, s15, s20
	s_xor_b64 s[22:23], s[0:1], s[20:21]
	v_cvt_f32_u32_e32 v3, s22
	v_cvt_f32_u32_e32 v12, s23
	s_sub_u32 s7, 0, s22
	s_subb_u32 s21, 0, s23
	v_mac_f32_e32 v3, 0x4f800000, v12
	v_rcp_f32_e32 v3, v3
	v_mul_f32_e32 v3, 0x5f7ffffc, v3
	v_mul_f32_e32 v12, 0x2f800000, v3
	v_trunc_f32_e32 v12, v12
	v_mac_f32_e32 v3, 0xcf800000, v12
	v_cvt_u32_f32_e32 v12, v12
	v_cvt_u32_f32_e32 v3, v3
	v_readfirstlane_b32 s28, v12
	v_readfirstlane_b32 s0, v3
	s_mul_i32 s1, s7, s28
	s_mul_hi_u32 s30, s7, s0
	s_mul_i32 s29, s21, s0
	s_add_i32 s1, s30, s1
	s_add_i32 s1, s1, s29
	s_mul_i32 s31, s7, s0
	s_mul_i32 s30, s0, s1
	s_mul_hi_u32 s33, s0, s31
	s_mul_hi_u32 s29, s0, s1
	s_add_u32 s30, s33, s30
	s_addc_u32 s29, 0, s29
	s_mul_hi_u32 s34, s28, s31
	s_mul_i32 s31, s28, s31
	s_add_u32 s30, s30, s31
	s_mul_hi_u32 s33, s28, s1
	s_addc_u32 s29, s29, s34
	s_addc_u32 s30, s33, 0
	s_mul_i32 s1, s28, s1
	s_add_u32 s1, s29, s1
	s_addc_u32 s29, 0, s30
	s_add_u32 s30, s0, s1
	s_cselect_b64 s[0:1], -1, 0
	s_cmp_lg_u64 s[0:1], 0
	s_addc_u32 s28, s28, s29
	s_mul_i32 s0, s7, s28
	s_mul_hi_u32 s1, s7, s30
	s_add_i32 s0, s1, s0
	s_mul_i32 s21, s21, s30
	s_add_i32 s0, s0, s21
	s_mul_i32 s7, s7, s30
	s_mul_hi_u32 s21, s28, s7
	s_mul_i32 s29, s28, s7
	s_mul_i32 s33, s30, s0
	s_mul_hi_u32 s7, s30, s7
	s_mul_hi_u32 s31, s30, s0
	s_add_u32 s7, s7, s33
	s_addc_u32 s31, 0, s31
	s_add_u32 s7, s7, s29
	s_mul_hi_u32 s1, s28, s0
	s_addc_u32 s7, s31, s21
	s_addc_u32 s1, s1, 0
	s_mul_i32 s0, s28, s0
	s_add_u32 s0, s7, s0
	s_addc_u32 s7, 0, s1
	s_add_u32 s21, s30, s0
	s_cselect_b64 s[0:1], -1, 0
	v_ashrrev_i32_e32 v3, 31, v11
	s_cmp_lg_u64 s[0:1], 0
	v_add_co_u32_e32 v12, vcc, v10, v3
	s_addc_u32 s7, s28, s7
	v_xor_b32_e32 v15, v12, v3
	v_addc_co_u32_e32 v13, vcc, v11, v3, vcc
	v_mad_u64_u32 v[11:12], s[0:1], v15, s7, 0
	v_mul_hi_u32 v14, v15, s21
	v_xor_b32_e32 v16, v13, v3
	v_xor_b32_e32 v3, s20, v3
	v_add_co_u32_e32 v17, vcc, v14, v11
	v_addc_co_u32_e32 v18, vcc, 0, v12, vcc
	v_mad_u64_u32 v[11:12], s[0:1], v16, s21, 0
	v_mad_u64_u32 v[13:14], s[0:1], v16, s7, 0
	v_add_co_u32_e32 v11, vcc, v17, v11
	v_addc_co_u32_e32 v11, vcc, v18, v12, vcc
	v_addc_co_u32_e32 v12, vcc, 0, v14, vcc
	v_add_co_u32_e32 v13, vcc, v11, v13
	v_addc_co_u32_e32 v11, vcc, 0, v12, vcc
	v_mul_lo_u32 v14, s23, v13
	v_mul_lo_u32 v17, s22, v11
	v_mad_u64_u32 v[11:12], s[0:1], s22, v13, 0
	v_add3_u32 v12, v12, v17, v14
	v_sub_u32_e32 v14, v16, v12
	v_mov_b32_e32 v17, s23
	v_sub_co_u32_e32 v11, vcc, v15, v11
	v_subb_co_u32_e64 v14, s[0:1], v14, v17, vcc
	v_subrev_co_u32_e64 v15, s[0:1], s22, v11
	v_subbrev_co_u32_e64 v14, s[0:1], 0, v14, s[0:1]
	v_cmp_le_u32_e64 s[0:1], s23, v14
	v_subb_co_u32_e32 v12, vcc, v16, v12, vcc
	v_cndmask_b32_e64 v17, 0, -1, s[0:1]
	v_cmp_le_u32_e64 s[0:1], s22, v15
	v_cmp_le_u32_e32 vcc, s23, v12
	v_cndmask_b32_e64 v15, 0, -1, s[0:1]
	v_cmp_eq_u32_e64 s[0:1], s23, v14
	v_cndmask_b32_e64 v16, 0, -1, vcc
	v_cmp_le_u32_e32 vcc, s22, v11
	v_cndmask_b32_e64 v14, v17, v15, s[0:1]
	v_cndmask_b32_e64 v11, 0, -1, vcc
	v_cmp_eq_u32_e32 vcc, s23, v12
	v_add_co_u32_e64 v15, s[0:1], 2, v13
	v_add_co_u32_e64 v17, s[0:1], 1, v13
	v_cndmask_b32_e32 v11, v16, v11, vcc
	v_cmp_ne_u32_e32 vcc, 0, v14
	v_cndmask_b32_e32 v12, v17, v15, vcc
	v_cmp_ne_u32_e32 vcc, 0, v11
	v_cndmask_b32_e32 v11, v13, v12, vcc
	v_xor_b32_e32 v11, v11, v3
	v_sub_co_u32_e32 v12, vcc, v11, v3
.LBB23_13:                              ;   in Loop: Header=BB23_3 Depth=1
	s_andn2_saveexec_b64 s[0:1], s[10:11]
	s_cbranch_execz .LBB23_2
; %bb.14:                               ;   in Loop: Header=BB23_3 Depth=1
	v_cvt_f32_u32_e32 v3, s14
	s_sub_i32 s7, 0, s14
	v_rcp_iflag_f32_e32 v3, v3
	v_mul_f32_e32 v3, 0x4f7ffffe, v3
	v_cvt_u32_f32_e32 v3, v3
	v_mul_lo_u32 v11, s7, v3
	v_mul_hi_u32 v11, v3, v11
	v_add_u32_e32 v3, v3, v11
	v_mul_hi_u32 v3, v10, v3
	v_mul_lo_u32 v11, v3, s14
	v_add_u32_e32 v12, 1, v3
	v_sub_u32_e32 v11, v10, v11
	v_subrev_u32_e32 v13, s14, v11
	v_cmp_le_u32_e32 vcc, s14, v11
	v_cndmask_b32_e32 v11, v11, v13, vcc
	v_cndmask_b32_e32 v3, v3, v12, vcc
	v_add_u32_e32 v12, 1, v3
	v_cmp_le_u32_e32 vcc, s14, v11
	v_cndmask_b32_e32 v12, v3, v12, vcc
	s_branch .LBB23_2
.LBB23_15:
	s_endpgm
	.section	.rodata,"a",@progbits
	.p2align	6, 0x0
	.amdhsa_kernel _ZN2at6native31max_unpooling2d_backward_kernelIdEEvlPKT_PKllllllPS2_
		.amdhsa_group_segment_fixed_size 0
		.amdhsa_private_segment_fixed_size 0
		.amdhsa_kernarg_size 328
		.amdhsa_user_sgpr_count 6
		.amdhsa_user_sgpr_private_segment_buffer 1
		.amdhsa_user_sgpr_dispatch_ptr 0
		.amdhsa_user_sgpr_queue_ptr 0
		.amdhsa_user_sgpr_kernarg_segment_ptr 1
		.amdhsa_user_sgpr_dispatch_id 0
		.amdhsa_user_sgpr_flat_scratch_init 0
		.amdhsa_user_sgpr_private_segment_size 0
		.amdhsa_uses_dynamic_stack 0
		.amdhsa_system_sgpr_private_segment_wavefront_offset 0
		.amdhsa_system_sgpr_workgroup_id_x 1
		.amdhsa_system_sgpr_workgroup_id_y 0
		.amdhsa_system_sgpr_workgroup_id_z 0
		.amdhsa_system_sgpr_workgroup_info 0
		.amdhsa_system_vgpr_workitem_id 0
		.amdhsa_next_free_vgpr 20
		.amdhsa_next_free_sgpr 35
		.amdhsa_reserve_vcc 1
		.amdhsa_reserve_flat_scratch 0
		.amdhsa_float_round_mode_32 0
		.amdhsa_float_round_mode_16_64 0
		.amdhsa_float_denorm_mode_32 3
		.amdhsa_float_denorm_mode_16_64 3
		.amdhsa_dx10_clamp 1
		.amdhsa_ieee_mode 1
		.amdhsa_fp16_overflow 0
		.amdhsa_exception_fp_ieee_invalid_op 0
		.amdhsa_exception_fp_denorm_src 0
		.amdhsa_exception_fp_ieee_div_zero 0
		.amdhsa_exception_fp_ieee_overflow 0
		.amdhsa_exception_fp_ieee_underflow 0
		.amdhsa_exception_fp_ieee_inexact 0
		.amdhsa_exception_int_div_zero 0
	.end_amdhsa_kernel
	.section	.text._ZN2at6native31max_unpooling2d_backward_kernelIdEEvlPKT_PKllllllPS2_,"axG",@progbits,_ZN2at6native31max_unpooling2d_backward_kernelIdEEvlPKT_PKllllllPS2_,comdat
.Lfunc_end23:
	.size	_ZN2at6native31max_unpooling2d_backward_kernelIdEEvlPKT_PKllllllPS2_, .Lfunc_end23-_ZN2at6native31max_unpooling2d_backward_kernelIdEEvlPKT_PKllllllPS2_
                                        ; -- End function
	.set _ZN2at6native31max_unpooling2d_backward_kernelIdEEvlPKT_PKllllllPS2_.num_vgpr, 20
	.set _ZN2at6native31max_unpooling2d_backward_kernelIdEEvlPKT_PKllllllPS2_.num_agpr, 0
	.set _ZN2at6native31max_unpooling2d_backward_kernelIdEEvlPKT_PKllllllPS2_.numbered_sgpr, 35
	.set _ZN2at6native31max_unpooling2d_backward_kernelIdEEvlPKT_PKllllllPS2_.num_named_barrier, 0
	.set _ZN2at6native31max_unpooling2d_backward_kernelIdEEvlPKT_PKllllllPS2_.private_seg_size, 0
	.set _ZN2at6native31max_unpooling2d_backward_kernelIdEEvlPKT_PKllllllPS2_.uses_vcc, 1
	.set _ZN2at6native31max_unpooling2d_backward_kernelIdEEvlPKT_PKllllllPS2_.uses_flat_scratch, 0
	.set _ZN2at6native31max_unpooling2d_backward_kernelIdEEvlPKT_PKllllllPS2_.has_dyn_sized_stack, 0
	.set _ZN2at6native31max_unpooling2d_backward_kernelIdEEvlPKT_PKllllllPS2_.has_recursion, 0
	.set _ZN2at6native31max_unpooling2d_backward_kernelIdEEvlPKT_PKllllllPS2_.has_indirect_call, 0
	.section	.AMDGPU.csdata,"",@progbits
; Kernel info:
; codeLenInByte = 2552
; TotalNumSgprs: 39
; NumVgprs: 20
; ScratchSize: 0
; MemoryBound: 0
; FloatMode: 240
; IeeeMode: 1
; LDSByteSize: 0 bytes/workgroup (compile time only)
; SGPRBlocks: 4
; VGPRBlocks: 4
; NumSGPRsForWavesPerEU: 39
; NumVGPRsForWavesPerEU: 20
; Occupancy: 10
; WaveLimiterHint : 1
; COMPUTE_PGM_RSRC2:SCRATCH_EN: 0
; COMPUTE_PGM_RSRC2:USER_SGPR: 6
; COMPUTE_PGM_RSRC2:TRAP_HANDLER: 0
; COMPUTE_PGM_RSRC2:TGID_X_EN: 1
; COMPUTE_PGM_RSRC2:TGID_Y_EN: 0
; COMPUTE_PGM_RSRC2:TGID_Z_EN: 0
; COMPUTE_PGM_RSRC2:TIDIG_COMP_CNT: 0
	.section	.text._ZN2at6native31max_unpooling2d_backward_kernelIfEEvlPKT_PKllllllPS2_,"axG",@progbits,_ZN2at6native31max_unpooling2d_backward_kernelIfEEvlPKT_PKllllllPS2_,comdat
	.protected	_ZN2at6native31max_unpooling2d_backward_kernelIfEEvlPKT_PKllllllPS2_ ; -- Begin function _ZN2at6native31max_unpooling2d_backward_kernelIfEEvlPKT_PKllllllPS2_
	.globl	_ZN2at6native31max_unpooling2d_backward_kernelIfEEvlPKT_PKllllllPS2_
	.p2align	8
	.type	_ZN2at6native31max_unpooling2d_backward_kernelIfEEvlPKT_PKllllllPS2_,@function
_ZN2at6native31max_unpooling2d_backward_kernelIfEEvlPKT_PKllllllPS2_: ; @_ZN2at6native31max_unpooling2d_backward_kernelIfEEvlPKT_PKllllllPS2_
; %bb.0:
	s_load_dword s2, s[4:5], 0x54
	s_load_dwordx16 s[8:23], s[4:5], 0x0
	s_add_u32 s0, s4, 0x48
	v_mov_b32_e32 v2, 0
	s_addc_u32 s1, s5, 0
	s_waitcnt lgkmcnt(0)
	s_and_b32 s7, s2, 0xffff
	v_mov_b32_e32 v1, v2
	v_mov_b32_e32 v3, s6
	v_mad_u64_u32 v[0:1], s[2:3], s7, v3, v[0:1]
	v_cmp_gt_i64_e32 vcc, s[8:9], v[0:1]
	s_and_saveexec_b64 s[2:3], vcc
	s_cbranch_execz .LBB24_15
; %bb.1:
	s_load_dwordx2 s[2:3], s[4:5], 0x40
	s_load_dword s6, s[0:1], 0x0
	s_mul_i32 s0, s22, s21
	s_mul_hi_u32 s1, s22, s20
	v_mov_b32_e32 v3, v0
	s_add_i32 s0, s1, s0
	s_mul_i32 s1, s23, s20
	s_waitcnt lgkmcnt(0)
	s_mul_i32 s26, s6, s7
	v_mov_b32_e32 v4, s10
	v_mov_b32_e32 v7, v3
	s_add_i32 s24, s0, s1
	s_mul_i32 s25, s22, s20
	s_mov_b32 s27, s26
	s_mov_b64 s[4:5], 0
	v_mov_b32_e32 v5, s11
	s_ashr_i32 s6, s19, 31
	v_mov_b32_e32 v6, v2
	s_branch .LBB24_3
.LBB24_2:                               ;   in Loop: Header=BB24_3 Depth=1
	s_or_b64 exec, exec, s[0:1]
	v_lshlrev_b64 v[13:14], 3, v[8:9]
	v_mov_b32_e32 v3, s13
	v_add_co_u32_e32 v13, vcc, s12, v13
	v_addc_co_u32_e32 v14, vcc, v3, v14, vcc
	global_load_dword v3, v[13:14], off
	v_mul_lo_u32 v11, v12, s14
	v_ashrrev_i32_e32 v13, 31, v12
	v_mul_lo_u32 v14, v12, s15
	v_mul_lo_u32 v13, v13, s14
	v_sub_u32_e32 v10, v10, v11
	v_ashrrev_i32_e32 v11, 31, v10
	v_mad_u64_u32 v[10:11], s[0:1], v12, s14, v[10:11]
	v_lshlrev_b64 v[8:9], 2, v[8:9]
	v_add3_u32 v12, v13, v11, v14
	v_mul_lo_u32 v13, s24, v10
	v_mad_u64_u32 v[10:11], s[0:1], s25, v10, 0
	v_mul_lo_u32 v12, s25, v12
	v_add_co_u32_e64 v8, s[0:1], s2, v8
	v_add3_u32 v11, v11, v12, v13
	v_lshlrev_b64 v[10:11], 2, v[10:11]
	v_add_co_u32_e32 v4, vcc, v4, v10
	v_addc_co_u32_e32 v5, vcc, v5, v11, vcc
	s_waitcnt vmcnt(0)
	v_ashrrev_i64 v[10:11], 30, v[2:3]
	v_add_co_u32_e32 v10, vcc, v4, v10
	v_addc_co_u32_e32 v11, vcc, v5, v11, vcc
	global_load_dword v3, v[10:11], off
	v_add_co_u32_e32 v0, vcc, s26, v0
	v_addc_co_u32_e32 v1, vcc, 0, v1, vcc
	v_cmp_le_i64_e32 vcc, s[8:9], v[0:1]
	v_mov_b32_e32 v10, s3
	v_mov_b32_e32 v11, s27
	s_or_b64 s[4:5], vcc, s[4:5]
	v_add_co_u32_e32 v6, vcc, 0, v6
	v_addc_co_u32_e64 v9, s[0:1], v10, v9, s[0:1]
	v_addc_co_u32_e32 v7, vcc, v7, v11, vcc
	s_waitcnt vmcnt(0)
	global_store_dword v[8:9], v3, off
	s_andn2_b64 exec, exec, s[4:5]
	s_cbranch_execz .LBB24_15
.LBB24_3:                               ; =>This Inner Loop Header: Depth=1
	v_ashrrev_i32_e32 v9, 31, v7
	v_or_b32_e32 v3, s19, v9
	v_cmp_ne_u64_e32 vcc, 0, v[2:3]
	v_mov_b32_e32 v8, v7
                                        ; implicit-def: $vgpr12_vgpr13
	s_and_saveexec_b64 s[0:1], vcc
	s_xor_b64 s[10:11], exec, s[0:1]
	s_cbranch_execz .LBB24_5
; %bb.4:                                ;   in Loop: Header=BB24_3 Depth=1
	s_add_u32 s0, s18, s6
	s_mov_b32 s7, s6
	s_addc_u32 s1, s19, s6
	s_xor_b64 s[20:21], s[0:1], s[6:7]
	v_cvt_f32_u32_e32 v3, s20
	v_cvt_f32_u32_e32 v10, s21
	s_sub_u32 s7, 0, s20
	s_subb_u32 s22, 0, s21
	v_mac_f32_e32 v3, 0x4f800000, v10
	v_rcp_f32_e32 v3, v3
	v_mul_f32_e32 v3, 0x5f7ffffc, v3
	v_mul_f32_e32 v10, 0x2f800000, v3
	v_trunc_f32_e32 v10, v10
	v_mac_f32_e32 v3, 0xcf800000, v10
	v_cvt_u32_f32_e32 v10, v10
	v_cvt_u32_f32_e32 v3, v3
	v_readfirstlane_b32 s23, v10
	v_readfirstlane_b32 s0, v3
	s_mul_i32 s1, s7, s23
	s_mul_hi_u32 s29, s7, s0
	s_mul_i32 s28, s22, s0
	s_add_i32 s1, s29, s1
	s_add_i32 s1, s1, s28
	s_mul_i32 s30, s7, s0
	s_mul_i32 s29, s0, s1
	s_mul_hi_u32 s31, s0, s30
	s_mul_hi_u32 s28, s0, s1
	s_add_u32 s29, s31, s29
	s_addc_u32 s28, 0, s28
	s_mul_hi_u32 s33, s23, s30
	s_mul_i32 s30, s23, s30
	s_add_u32 s29, s29, s30
	s_mul_hi_u32 s31, s23, s1
	s_addc_u32 s28, s28, s33
	s_addc_u32 s29, s31, 0
	s_mul_i32 s1, s23, s1
	s_add_u32 s1, s28, s1
	s_addc_u32 s28, 0, s29
	s_add_u32 s29, s0, s1
	s_cselect_b64 s[0:1], -1, 0
	s_cmp_lg_u64 s[0:1], 0
	s_addc_u32 s23, s23, s28
	s_mul_i32 s0, s7, s23
	s_mul_hi_u32 s1, s7, s29
	s_add_i32 s0, s1, s0
	s_mul_i32 s22, s22, s29
	s_add_i32 s0, s0, s22
	s_mul_i32 s7, s7, s29
	s_mul_hi_u32 s22, s23, s7
	s_mul_i32 s28, s23, s7
	s_mul_i32 s31, s29, s0
	s_mul_hi_u32 s7, s29, s7
	s_mul_hi_u32 s30, s29, s0
	s_add_u32 s7, s7, s31
	s_addc_u32 s30, 0, s30
	s_add_u32 s7, s7, s28
	s_mul_hi_u32 s1, s23, s0
	s_addc_u32 s7, s30, s22
	s_addc_u32 s1, s1, 0
	s_mul_i32 s0, s23, s0
	s_add_u32 s0, s7, s0
	s_addc_u32 s7, 0, s1
	s_add_u32 s22, s29, s0
	s_cselect_b64 s[0:1], -1, 0
	v_ashrrev_i32_e32 v3, 31, v9
	s_cmp_lg_u64 s[0:1], 0
	v_add_co_u32_e32 v10, vcc, v8, v3
	s_addc_u32 s7, s23, s7
	v_xor_b32_e32 v14, v10, v3
	v_mad_u64_u32 v[10:11], s[0:1], v14, s7, 0
	v_mul_hi_u32 v13, v14, s22
	v_addc_co_u32_e32 v12, vcc, v9, v3, vcc
	v_xor_b32_e32 v15, v12, v3
	v_add_co_u32_e32 v16, vcc, v13, v10
	v_addc_co_u32_e32 v17, vcc, 0, v11, vcc
	v_mad_u64_u32 v[10:11], s[0:1], v15, s22, 0
	v_mad_u64_u32 v[12:13], s[0:1], v15, s7, 0
	v_add_co_u32_e32 v10, vcc, v16, v10
	v_addc_co_u32_e32 v10, vcc, v17, v11, vcc
	v_addc_co_u32_e32 v11, vcc, 0, v13, vcc
	v_add_co_u32_e32 v12, vcc, v10, v12
	v_addc_co_u32_e32 v13, vcc, 0, v11, vcc
	v_mul_lo_u32 v16, s21, v12
	v_mul_lo_u32 v17, s20, v13
	v_mad_u64_u32 v[10:11], s[0:1], s20, v12, 0
	v_xor_b32_e32 v3, s6, v3
	v_add3_u32 v11, v11, v17, v16
	v_sub_u32_e32 v16, v15, v11
	v_mov_b32_e32 v17, s21
	v_sub_co_u32_e32 v10, vcc, v14, v10
	v_subb_co_u32_e64 v14, s[0:1], v16, v17, vcc
	v_subrev_co_u32_e64 v16, s[0:1], s20, v10
	v_subbrev_co_u32_e64 v14, s[0:1], 0, v14, s[0:1]
	v_cmp_le_u32_e64 s[0:1], s21, v14
	v_cndmask_b32_e64 v17, 0, -1, s[0:1]
	v_cmp_le_u32_e64 s[0:1], s20, v16
	v_cndmask_b32_e64 v16, 0, -1, s[0:1]
	v_cmp_eq_u32_e64 s[0:1], s21, v14
	v_cndmask_b32_e64 v14, v17, v16, s[0:1]
	v_add_co_u32_e64 v16, s[0:1], 2, v12
	v_subb_co_u32_e32 v11, vcc, v15, v11, vcc
	v_addc_co_u32_e64 v17, s[0:1], 0, v13, s[0:1]
	v_cmp_le_u32_e32 vcc, s21, v11
	v_add_co_u32_e64 v18, s[0:1], 1, v12
	v_cndmask_b32_e64 v15, 0, -1, vcc
	v_cmp_le_u32_e32 vcc, s20, v10
	v_addc_co_u32_e64 v19, s[0:1], 0, v13, s[0:1]
	v_cndmask_b32_e64 v10, 0, -1, vcc
	v_cmp_eq_u32_e32 vcc, s21, v11
	v_cmp_ne_u32_e64 s[0:1], 0, v14
	v_cndmask_b32_e32 v10, v15, v10, vcc
	v_cmp_ne_u32_e32 vcc, 0, v10
	v_cndmask_b32_e64 v11, v18, v16, s[0:1]
	v_cndmask_b32_e64 v14, v19, v17, s[0:1]
	v_cndmask_b32_e32 v11, v12, v11, vcc
	v_cndmask_b32_e32 v10, v13, v14, vcc
	v_xor_b32_e32 v11, v11, v3
	v_xor_b32_e32 v10, v10, v3
	v_sub_co_u32_e32 v12, vcc, v11, v3
	v_subb_co_u32_e32 v13, vcc, v10, v3, vcc
.LBB24_5:                               ;   in Loop: Header=BB24_3 Depth=1
	s_andn2_saveexec_b64 s[0:1], s[10:11]
	s_cbranch_execz .LBB24_7
; %bb.6:                                ;   in Loop: Header=BB24_3 Depth=1
	v_cvt_f32_u32_e32 v3, s18
	s_sub_i32 s7, 0, s18
	v_mov_b32_e32 v13, v2
	v_rcp_iflag_f32_e32 v3, v3
	v_mul_f32_e32 v3, 0x4f7ffffe, v3
	v_cvt_u32_f32_e32 v3, v3
	v_mul_lo_u32 v10, s7, v3
	v_mul_hi_u32 v10, v3, v10
	v_add_u32_e32 v3, v3, v10
	v_mul_hi_u32 v3, v7, v3
	v_mul_lo_u32 v10, v3, s18
	v_add_u32_e32 v11, 1, v3
	v_sub_u32_e32 v10, v7, v10
	v_subrev_u32_e32 v12, s18, v10
	v_cmp_le_u32_e32 vcc, s18, v10
	v_cndmask_b32_e32 v10, v10, v12, vcc
	v_cndmask_b32_e32 v3, v3, v11, vcc
	v_add_u32_e32 v11, 1, v3
	v_cmp_le_u32_e32 vcc, s18, v10
	v_cndmask_b32_e32 v12, v3, v11, vcc
.LBB24_7:                               ;   in Loop: Header=BB24_3 Depth=1
	s_or_b64 exec, exec, s[0:1]
	v_or_b32_e32 v3, s17, v13
	v_cmp_ne_u64_e32 vcc, 0, v[2:3]
                                        ; implicit-def: $vgpr10_vgpr11
	s_and_saveexec_b64 s[0:1], vcc
	s_xor_b64 s[10:11], exec, s[0:1]
	s_cbranch_execz .LBB24_9
; %bb.8:                                ;   in Loop: Header=BB24_3 Depth=1
	s_ashr_i32 s20, s17, 31
	s_add_u32 s0, s16, s20
	s_mov_b32 s21, s20
	s_addc_u32 s1, s17, s20
	s_xor_b64 s[22:23], s[0:1], s[20:21]
	v_cvt_f32_u32_e32 v3, s22
	v_cvt_f32_u32_e32 v10, s23
	s_sub_u32 s7, 0, s22
	s_subb_u32 s21, 0, s23
	v_mac_f32_e32 v3, 0x4f800000, v10
	v_rcp_f32_e32 v3, v3
	v_mul_f32_e32 v3, 0x5f7ffffc, v3
	v_mul_f32_e32 v10, 0x2f800000, v3
	v_trunc_f32_e32 v10, v10
	v_mac_f32_e32 v3, 0xcf800000, v10
	v_cvt_u32_f32_e32 v10, v10
	v_cvt_u32_f32_e32 v3, v3
	v_readfirstlane_b32 s28, v10
	v_readfirstlane_b32 s0, v3
	s_mul_i32 s1, s7, s28
	s_mul_hi_u32 s30, s7, s0
	s_mul_i32 s29, s21, s0
	s_add_i32 s1, s30, s1
	s_add_i32 s1, s1, s29
	s_mul_i32 s31, s7, s0
	s_mul_i32 s30, s0, s1
	s_mul_hi_u32 s33, s0, s31
	s_mul_hi_u32 s29, s0, s1
	s_add_u32 s30, s33, s30
	s_addc_u32 s29, 0, s29
	s_mul_hi_u32 s34, s28, s31
	s_mul_i32 s31, s28, s31
	s_add_u32 s30, s30, s31
	s_mul_hi_u32 s33, s28, s1
	s_addc_u32 s29, s29, s34
	s_addc_u32 s30, s33, 0
	s_mul_i32 s1, s28, s1
	s_add_u32 s1, s29, s1
	s_addc_u32 s29, 0, s30
	s_add_u32 s30, s0, s1
	s_cselect_b64 s[0:1], -1, 0
	s_cmp_lg_u64 s[0:1], 0
	s_addc_u32 s28, s28, s29
	s_mul_i32 s0, s7, s28
	s_mul_hi_u32 s1, s7, s30
	s_add_i32 s0, s1, s0
	s_mul_i32 s21, s21, s30
	s_add_i32 s0, s0, s21
	s_mul_i32 s7, s7, s30
	s_mul_hi_u32 s21, s28, s7
	s_mul_i32 s29, s28, s7
	s_mul_i32 s33, s30, s0
	s_mul_hi_u32 s7, s30, s7
	s_mul_hi_u32 s31, s30, s0
	s_add_u32 s7, s7, s33
	s_addc_u32 s31, 0, s31
	s_add_u32 s7, s7, s29
	s_mul_hi_u32 s1, s28, s0
	s_addc_u32 s7, s31, s21
	s_addc_u32 s1, s1, 0
	s_mul_i32 s0, s28, s0
	s_add_u32 s0, s7, s0
	s_addc_u32 s7, 0, s1
	s_add_u32 s21, s30, s0
	s_cselect_b64 s[0:1], -1, 0
	v_ashrrev_i32_e32 v3, 31, v13
	s_cmp_lg_u64 s[0:1], 0
	v_add_co_u32_e32 v10, vcc, v12, v3
	s_addc_u32 s7, s28, s7
	v_xor_b32_e32 v14, v10, v3
	v_addc_co_u32_e32 v12, vcc, v13, v3, vcc
	v_mad_u64_u32 v[10:11], s[0:1], v14, s7, 0
	v_mul_hi_u32 v13, v14, s21
	v_xor_b32_e32 v15, v12, v3
	v_xor_b32_e32 v3, s20, v3
	v_add_co_u32_e32 v16, vcc, v13, v10
	v_addc_co_u32_e32 v17, vcc, 0, v11, vcc
	v_mad_u64_u32 v[10:11], s[0:1], v15, s21, 0
	v_mad_u64_u32 v[12:13], s[0:1], v15, s7, 0
	v_add_co_u32_e32 v10, vcc, v16, v10
	v_addc_co_u32_e32 v10, vcc, v17, v11, vcc
	v_addc_co_u32_e32 v11, vcc, 0, v13, vcc
	v_add_co_u32_e32 v12, vcc, v10, v12
	v_addc_co_u32_e32 v13, vcc, 0, v11, vcc
	v_mul_lo_u32 v16, s23, v12
	v_mul_lo_u32 v17, s22, v13
	v_mad_u64_u32 v[10:11], s[0:1], s22, v12, 0
	v_add3_u32 v11, v11, v17, v16
	v_sub_u32_e32 v16, v15, v11
	v_mov_b32_e32 v17, s23
	v_sub_co_u32_e32 v10, vcc, v14, v10
	v_subb_co_u32_e64 v14, s[0:1], v16, v17, vcc
	v_subrev_co_u32_e64 v16, s[0:1], s22, v10
	v_subbrev_co_u32_e64 v14, s[0:1], 0, v14, s[0:1]
	v_cmp_le_u32_e64 s[0:1], s23, v14
	v_cndmask_b32_e64 v17, 0, -1, s[0:1]
	v_cmp_le_u32_e64 s[0:1], s22, v16
	v_cndmask_b32_e64 v16, 0, -1, s[0:1]
	v_cmp_eq_u32_e64 s[0:1], s23, v14
	v_cndmask_b32_e64 v14, v17, v16, s[0:1]
	v_add_co_u32_e64 v16, s[0:1], 2, v12
	v_subb_co_u32_e32 v11, vcc, v15, v11, vcc
	v_addc_co_u32_e64 v17, s[0:1], 0, v13, s[0:1]
	v_cmp_le_u32_e32 vcc, s23, v11
	v_add_co_u32_e64 v18, s[0:1], 1, v12
	v_cndmask_b32_e64 v15, 0, -1, vcc
	v_cmp_le_u32_e32 vcc, s22, v10
	v_addc_co_u32_e64 v19, s[0:1], 0, v13, s[0:1]
	v_cndmask_b32_e64 v10, 0, -1, vcc
	v_cmp_eq_u32_e32 vcc, s23, v11
	v_cmp_ne_u32_e64 s[0:1], 0, v14
	v_cndmask_b32_e32 v10, v15, v10, vcc
	v_cndmask_b32_e64 v14, v19, v17, s[0:1]
	v_cmp_ne_u32_e32 vcc, 0, v10
	v_cndmask_b32_e64 v11, v18, v16, s[0:1]
	v_cndmask_b32_e32 v10, v13, v14, vcc
	v_cndmask_b32_e32 v11, v12, v11, vcc
	v_xor_b32_e32 v12, v10, v3
	v_xor_b32_e32 v10, v11, v3
	v_sub_co_u32_e32 v10, vcc, v10, v3
	v_subb_co_u32_e32 v11, vcc, v12, v3, vcc
                                        ; implicit-def: $vgpr12_vgpr13
.LBB24_9:                               ;   in Loop: Header=BB24_3 Depth=1
	s_andn2_saveexec_b64 s[0:1], s[10:11]
	s_cbranch_execz .LBB24_11
; %bb.10:                               ;   in Loop: Header=BB24_3 Depth=1
	v_cvt_f32_u32_e32 v3, s16
	s_sub_i32 s7, 0, s16
	v_rcp_iflag_f32_e32 v3, v3
	v_mul_f32_e32 v3, 0x4f7ffffe, v3
	v_cvt_u32_f32_e32 v3, v3
	v_mul_lo_u32 v10, s7, v3
	v_mul_hi_u32 v10, v3, v10
	v_add_u32_e32 v3, v3, v10
	v_mul_hi_u32 v3, v12, v3
	v_mul_lo_u32 v10, v3, s16
	v_add_u32_e32 v11, 1, v3
	v_sub_u32_e32 v10, v12, v10
	v_subrev_u32_e32 v12, s16, v10
	v_cmp_le_u32_e32 vcc, s16, v10
	v_cndmask_b32_e32 v10, v10, v12, vcc
	v_cndmask_b32_e32 v3, v3, v11, vcc
	v_add_u32_e32 v11, 1, v3
	v_cmp_le_u32_e32 vcc, s16, v10
	v_cndmask_b32_e32 v10, v3, v11, vcc
	v_mov_b32_e32 v11, v2
.LBB24_11:                              ;   in Loop: Header=BB24_3 Depth=1
	s_or_b64 exec, exec, s[0:1]
	v_or_b32_e32 v3, s15, v11
	v_cmp_ne_u64_e32 vcc, 0, v[2:3]
                                        ; implicit-def: $vgpr12_vgpr13
	s_and_saveexec_b64 s[0:1], vcc
	s_xor_b64 s[10:11], exec, s[0:1]
	s_cbranch_execz .LBB24_13
; %bb.12:                               ;   in Loop: Header=BB24_3 Depth=1
	s_ashr_i32 s20, s15, 31
	s_add_u32 s0, s14, s20
	s_mov_b32 s21, s20
	s_addc_u32 s1, s15, s20
	s_xor_b64 s[22:23], s[0:1], s[20:21]
	v_cvt_f32_u32_e32 v3, s22
	v_cvt_f32_u32_e32 v12, s23
	s_sub_u32 s7, 0, s22
	s_subb_u32 s21, 0, s23
	v_mac_f32_e32 v3, 0x4f800000, v12
	v_rcp_f32_e32 v3, v3
	v_mul_f32_e32 v3, 0x5f7ffffc, v3
	v_mul_f32_e32 v12, 0x2f800000, v3
	v_trunc_f32_e32 v12, v12
	v_mac_f32_e32 v3, 0xcf800000, v12
	v_cvt_u32_f32_e32 v12, v12
	v_cvt_u32_f32_e32 v3, v3
	v_readfirstlane_b32 s28, v12
	v_readfirstlane_b32 s0, v3
	s_mul_i32 s1, s7, s28
	s_mul_hi_u32 s30, s7, s0
	s_mul_i32 s29, s21, s0
	s_add_i32 s1, s30, s1
	s_add_i32 s1, s1, s29
	s_mul_i32 s31, s7, s0
	s_mul_i32 s30, s0, s1
	s_mul_hi_u32 s33, s0, s31
	s_mul_hi_u32 s29, s0, s1
	s_add_u32 s30, s33, s30
	s_addc_u32 s29, 0, s29
	s_mul_hi_u32 s34, s28, s31
	s_mul_i32 s31, s28, s31
	s_add_u32 s30, s30, s31
	s_mul_hi_u32 s33, s28, s1
	s_addc_u32 s29, s29, s34
	s_addc_u32 s30, s33, 0
	s_mul_i32 s1, s28, s1
	s_add_u32 s1, s29, s1
	s_addc_u32 s29, 0, s30
	s_add_u32 s30, s0, s1
	s_cselect_b64 s[0:1], -1, 0
	s_cmp_lg_u64 s[0:1], 0
	s_addc_u32 s28, s28, s29
	s_mul_i32 s0, s7, s28
	s_mul_hi_u32 s1, s7, s30
	s_add_i32 s0, s1, s0
	s_mul_i32 s21, s21, s30
	s_add_i32 s0, s0, s21
	s_mul_i32 s7, s7, s30
	s_mul_hi_u32 s21, s28, s7
	s_mul_i32 s29, s28, s7
	s_mul_i32 s33, s30, s0
	s_mul_hi_u32 s7, s30, s7
	s_mul_hi_u32 s31, s30, s0
	s_add_u32 s7, s7, s33
	s_addc_u32 s31, 0, s31
	s_add_u32 s7, s7, s29
	s_mul_hi_u32 s1, s28, s0
	s_addc_u32 s7, s31, s21
	s_addc_u32 s1, s1, 0
	s_mul_i32 s0, s28, s0
	s_add_u32 s0, s7, s0
	s_addc_u32 s7, 0, s1
	s_add_u32 s21, s30, s0
	s_cselect_b64 s[0:1], -1, 0
	v_ashrrev_i32_e32 v3, 31, v11
	s_cmp_lg_u64 s[0:1], 0
	v_add_co_u32_e32 v12, vcc, v10, v3
	s_addc_u32 s7, s28, s7
	v_xor_b32_e32 v15, v12, v3
	v_addc_co_u32_e32 v13, vcc, v11, v3, vcc
	v_mad_u64_u32 v[11:12], s[0:1], v15, s7, 0
	v_mul_hi_u32 v14, v15, s21
	v_xor_b32_e32 v16, v13, v3
	v_xor_b32_e32 v3, s20, v3
	v_add_co_u32_e32 v17, vcc, v14, v11
	v_addc_co_u32_e32 v18, vcc, 0, v12, vcc
	v_mad_u64_u32 v[11:12], s[0:1], v16, s21, 0
	v_mad_u64_u32 v[13:14], s[0:1], v16, s7, 0
	v_add_co_u32_e32 v11, vcc, v17, v11
	v_addc_co_u32_e32 v11, vcc, v18, v12, vcc
	v_addc_co_u32_e32 v12, vcc, 0, v14, vcc
	v_add_co_u32_e32 v13, vcc, v11, v13
	v_addc_co_u32_e32 v11, vcc, 0, v12, vcc
	v_mul_lo_u32 v14, s23, v13
	v_mul_lo_u32 v17, s22, v11
	v_mad_u64_u32 v[11:12], s[0:1], s22, v13, 0
	v_add3_u32 v12, v12, v17, v14
	v_sub_u32_e32 v14, v16, v12
	v_mov_b32_e32 v17, s23
	v_sub_co_u32_e32 v11, vcc, v15, v11
	v_subb_co_u32_e64 v14, s[0:1], v14, v17, vcc
	v_subrev_co_u32_e64 v15, s[0:1], s22, v11
	v_subbrev_co_u32_e64 v14, s[0:1], 0, v14, s[0:1]
	v_cmp_le_u32_e64 s[0:1], s23, v14
	v_subb_co_u32_e32 v12, vcc, v16, v12, vcc
	v_cndmask_b32_e64 v17, 0, -1, s[0:1]
	v_cmp_le_u32_e64 s[0:1], s22, v15
	v_cmp_le_u32_e32 vcc, s23, v12
	v_cndmask_b32_e64 v15, 0, -1, s[0:1]
	v_cmp_eq_u32_e64 s[0:1], s23, v14
	v_cndmask_b32_e64 v16, 0, -1, vcc
	v_cmp_le_u32_e32 vcc, s22, v11
	v_cndmask_b32_e64 v14, v17, v15, s[0:1]
	v_cndmask_b32_e64 v11, 0, -1, vcc
	v_cmp_eq_u32_e32 vcc, s23, v12
	v_add_co_u32_e64 v15, s[0:1], 2, v13
	v_add_co_u32_e64 v17, s[0:1], 1, v13
	v_cndmask_b32_e32 v11, v16, v11, vcc
	v_cmp_ne_u32_e32 vcc, 0, v14
	v_cndmask_b32_e32 v12, v17, v15, vcc
	v_cmp_ne_u32_e32 vcc, 0, v11
	v_cndmask_b32_e32 v11, v13, v12, vcc
	v_xor_b32_e32 v11, v11, v3
	v_sub_co_u32_e32 v12, vcc, v11, v3
.LBB24_13:                              ;   in Loop: Header=BB24_3 Depth=1
	s_andn2_saveexec_b64 s[0:1], s[10:11]
	s_cbranch_execz .LBB24_2
; %bb.14:                               ;   in Loop: Header=BB24_3 Depth=1
	v_cvt_f32_u32_e32 v3, s14
	s_sub_i32 s7, 0, s14
	v_rcp_iflag_f32_e32 v3, v3
	v_mul_f32_e32 v3, 0x4f7ffffe, v3
	v_cvt_u32_f32_e32 v3, v3
	v_mul_lo_u32 v11, s7, v3
	v_mul_hi_u32 v11, v3, v11
	v_add_u32_e32 v3, v3, v11
	v_mul_hi_u32 v3, v10, v3
	v_mul_lo_u32 v11, v3, s14
	v_add_u32_e32 v12, 1, v3
	v_sub_u32_e32 v11, v10, v11
	v_subrev_u32_e32 v13, s14, v11
	v_cmp_le_u32_e32 vcc, s14, v11
	v_cndmask_b32_e32 v11, v11, v13, vcc
	v_cndmask_b32_e32 v3, v3, v12, vcc
	v_add_u32_e32 v12, 1, v3
	v_cmp_le_u32_e32 vcc, s14, v11
	v_cndmask_b32_e32 v12, v3, v12, vcc
	s_branch .LBB24_2
.LBB24_15:
	s_endpgm
	.section	.rodata,"a",@progbits
	.p2align	6, 0x0
	.amdhsa_kernel _ZN2at6native31max_unpooling2d_backward_kernelIfEEvlPKT_PKllllllPS2_
		.amdhsa_group_segment_fixed_size 0
		.amdhsa_private_segment_fixed_size 0
		.amdhsa_kernarg_size 328
		.amdhsa_user_sgpr_count 6
		.amdhsa_user_sgpr_private_segment_buffer 1
		.amdhsa_user_sgpr_dispatch_ptr 0
		.amdhsa_user_sgpr_queue_ptr 0
		.amdhsa_user_sgpr_kernarg_segment_ptr 1
		.amdhsa_user_sgpr_dispatch_id 0
		.amdhsa_user_sgpr_flat_scratch_init 0
		.amdhsa_user_sgpr_private_segment_size 0
		.amdhsa_uses_dynamic_stack 0
		.amdhsa_system_sgpr_private_segment_wavefront_offset 0
		.amdhsa_system_sgpr_workgroup_id_x 1
		.amdhsa_system_sgpr_workgroup_id_y 0
		.amdhsa_system_sgpr_workgroup_id_z 0
		.amdhsa_system_sgpr_workgroup_info 0
		.amdhsa_system_vgpr_workitem_id 0
		.amdhsa_next_free_vgpr 20
		.amdhsa_next_free_sgpr 35
		.amdhsa_reserve_vcc 1
		.amdhsa_reserve_flat_scratch 0
		.amdhsa_float_round_mode_32 0
		.amdhsa_float_round_mode_16_64 0
		.amdhsa_float_denorm_mode_32 3
		.amdhsa_float_denorm_mode_16_64 3
		.amdhsa_dx10_clamp 1
		.amdhsa_ieee_mode 1
		.amdhsa_fp16_overflow 0
		.amdhsa_exception_fp_ieee_invalid_op 0
		.amdhsa_exception_fp_denorm_src 0
		.amdhsa_exception_fp_ieee_div_zero 0
		.amdhsa_exception_fp_ieee_overflow 0
		.amdhsa_exception_fp_ieee_underflow 0
		.amdhsa_exception_fp_ieee_inexact 0
		.amdhsa_exception_int_div_zero 0
	.end_amdhsa_kernel
	.section	.text._ZN2at6native31max_unpooling2d_backward_kernelIfEEvlPKT_PKllllllPS2_,"axG",@progbits,_ZN2at6native31max_unpooling2d_backward_kernelIfEEvlPKT_PKllllllPS2_,comdat
.Lfunc_end24:
	.size	_ZN2at6native31max_unpooling2d_backward_kernelIfEEvlPKT_PKllllllPS2_, .Lfunc_end24-_ZN2at6native31max_unpooling2d_backward_kernelIfEEvlPKT_PKllllllPS2_
                                        ; -- End function
	.set _ZN2at6native31max_unpooling2d_backward_kernelIfEEvlPKT_PKllllllPS2_.num_vgpr, 20
	.set _ZN2at6native31max_unpooling2d_backward_kernelIfEEvlPKT_PKllllllPS2_.num_agpr, 0
	.set _ZN2at6native31max_unpooling2d_backward_kernelIfEEvlPKT_PKllllllPS2_.numbered_sgpr, 35
	.set _ZN2at6native31max_unpooling2d_backward_kernelIfEEvlPKT_PKllllllPS2_.num_named_barrier, 0
	.set _ZN2at6native31max_unpooling2d_backward_kernelIfEEvlPKT_PKllllllPS2_.private_seg_size, 0
	.set _ZN2at6native31max_unpooling2d_backward_kernelIfEEvlPKT_PKllllllPS2_.uses_vcc, 1
	.set _ZN2at6native31max_unpooling2d_backward_kernelIfEEvlPKT_PKllllllPS2_.uses_flat_scratch, 0
	.set _ZN2at6native31max_unpooling2d_backward_kernelIfEEvlPKT_PKllllllPS2_.has_dyn_sized_stack, 0
	.set _ZN2at6native31max_unpooling2d_backward_kernelIfEEvlPKT_PKllllllPS2_.has_recursion, 0
	.set _ZN2at6native31max_unpooling2d_backward_kernelIfEEvlPKT_PKllllllPS2_.has_indirect_call, 0
	.section	.AMDGPU.csdata,"",@progbits
; Kernel info:
; codeLenInByte = 2560
; TotalNumSgprs: 39
; NumVgprs: 20
; ScratchSize: 0
; MemoryBound: 0
; FloatMode: 240
; IeeeMode: 1
; LDSByteSize: 0 bytes/workgroup (compile time only)
; SGPRBlocks: 4
; VGPRBlocks: 4
; NumSGPRsForWavesPerEU: 39
; NumVGPRsForWavesPerEU: 20
; Occupancy: 10
; WaveLimiterHint : 1
; COMPUTE_PGM_RSRC2:SCRATCH_EN: 0
; COMPUTE_PGM_RSRC2:USER_SGPR: 6
; COMPUTE_PGM_RSRC2:TRAP_HANDLER: 0
; COMPUTE_PGM_RSRC2:TGID_X_EN: 1
; COMPUTE_PGM_RSRC2:TGID_Y_EN: 0
; COMPUTE_PGM_RSRC2:TGID_Z_EN: 0
; COMPUTE_PGM_RSRC2:TIDIG_COMP_CNT: 0
	.section	.text._ZN2at6native31max_unpooling2d_backward_kernelIN3c104HalfEEEvlPKT_PKllllllPS4_,"axG",@progbits,_ZN2at6native31max_unpooling2d_backward_kernelIN3c104HalfEEEvlPKT_PKllllllPS4_,comdat
	.protected	_ZN2at6native31max_unpooling2d_backward_kernelIN3c104HalfEEEvlPKT_PKllllllPS4_ ; -- Begin function _ZN2at6native31max_unpooling2d_backward_kernelIN3c104HalfEEEvlPKT_PKllllllPS4_
	.globl	_ZN2at6native31max_unpooling2d_backward_kernelIN3c104HalfEEEvlPKT_PKllllllPS4_
	.p2align	8
	.type	_ZN2at6native31max_unpooling2d_backward_kernelIN3c104HalfEEEvlPKT_PKllllllPS4_,@function
_ZN2at6native31max_unpooling2d_backward_kernelIN3c104HalfEEEvlPKT_PKllllllPS4_: ; @_ZN2at6native31max_unpooling2d_backward_kernelIN3c104HalfEEEvlPKT_PKllllllPS4_
; %bb.0:
	s_load_dword s2, s[4:5], 0x54
	s_load_dwordx16 s[8:23], s[4:5], 0x0
	s_add_u32 s0, s4, 0x48
	v_mov_b32_e32 v2, 0
	s_addc_u32 s1, s5, 0
	s_waitcnt lgkmcnt(0)
	s_and_b32 s7, s2, 0xffff
	v_mov_b32_e32 v1, v2
	v_mov_b32_e32 v3, s6
	v_mad_u64_u32 v[0:1], s[2:3], s7, v3, v[0:1]
	v_cmp_gt_i64_e32 vcc, s[8:9], v[0:1]
	s_and_saveexec_b64 s[2:3], vcc
	s_cbranch_execz .LBB25_15
; %bb.1:
	s_load_dwordx2 s[2:3], s[4:5], 0x40
	s_load_dword s6, s[0:1], 0x0
	s_mul_i32 s0, s22, s21
	s_mul_hi_u32 s1, s22, s20
	v_mov_b32_e32 v3, v0
	s_add_i32 s0, s1, s0
	s_mul_i32 s1, s23, s20
	s_waitcnt lgkmcnt(0)
	s_mul_i32 s26, s6, s7
	v_mov_b32_e32 v4, s10
	v_mov_b32_e32 v7, v3
	s_add_i32 s24, s0, s1
	s_mul_i32 s25, s22, s20
	s_mov_b32 s27, s26
	s_mov_b64 s[4:5], 0
	v_mov_b32_e32 v5, s11
	s_ashr_i32 s6, s19, 31
	v_mov_b32_e32 v6, v2
	s_branch .LBB25_3
.LBB25_2:                               ;   in Loop: Header=BB25_3 Depth=1
	s_or_b64 exec, exec, s[0:1]
	v_lshlrev_b64 v[13:14], 3, v[8:9]
	v_mov_b32_e32 v3, s13
	v_add_co_u32_e32 v13, vcc, s12, v13
	v_addc_co_u32_e32 v14, vcc, v3, v14, vcc
	global_load_dword v3, v[13:14], off
	v_mul_lo_u32 v11, v12, s14
	v_ashrrev_i32_e32 v13, 31, v12
	v_mul_lo_u32 v14, v12, s15
	v_mul_lo_u32 v13, v13, s14
	v_sub_u32_e32 v10, v10, v11
	v_ashrrev_i32_e32 v11, 31, v10
	v_mad_u64_u32 v[10:11], s[0:1], v12, s14, v[10:11]
	v_lshlrev_b64 v[8:9], 1, v[8:9]
	v_add3_u32 v12, v13, v11, v14
	v_mul_lo_u32 v13, s24, v10
	v_mad_u64_u32 v[10:11], s[0:1], s25, v10, 0
	v_mul_lo_u32 v12, s25, v12
	v_add_co_u32_e64 v8, s[0:1], s2, v8
	v_add3_u32 v11, v11, v12, v13
	v_lshlrev_b64 v[10:11], 1, v[10:11]
	v_add_co_u32_e32 v4, vcc, v4, v10
	v_addc_co_u32_e32 v5, vcc, v5, v11, vcc
	s_waitcnt vmcnt(0)
	v_ashrrev_i64 v[10:11], 31, v[2:3]
	v_add_co_u32_e32 v10, vcc, v4, v10
	v_addc_co_u32_e32 v11, vcc, v5, v11, vcc
	global_load_ushort v3, v[10:11], off
	v_add_co_u32_e32 v0, vcc, s26, v0
	v_addc_co_u32_e32 v1, vcc, 0, v1, vcc
	v_cmp_le_i64_e32 vcc, s[8:9], v[0:1]
	v_mov_b32_e32 v10, s3
	v_mov_b32_e32 v11, s27
	s_or_b64 s[4:5], vcc, s[4:5]
	v_add_co_u32_e32 v6, vcc, 0, v6
	v_addc_co_u32_e64 v9, s[0:1], v10, v9, s[0:1]
	v_addc_co_u32_e32 v7, vcc, v7, v11, vcc
	s_waitcnt vmcnt(0)
	global_store_short v[8:9], v3, off
	s_andn2_b64 exec, exec, s[4:5]
	s_cbranch_execz .LBB25_15
.LBB25_3:                               ; =>This Inner Loop Header: Depth=1
	v_ashrrev_i32_e32 v9, 31, v7
	v_or_b32_e32 v3, s19, v9
	v_cmp_ne_u64_e32 vcc, 0, v[2:3]
	v_mov_b32_e32 v8, v7
                                        ; implicit-def: $vgpr12_vgpr13
	s_and_saveexec_b64 s[0:1], vcc
	s_xor_b64 s[10:11], exec, s[0:1]
	s_cbranch_execz .LBB25_5
; %bb.4:                                ;   in Loop: Header=BB25_3 Depth=1
	s_add_u32 s0, s18, s6
	s_mov_b32 s7, s6
	s_addc_u32 s1, s19, s6
	s_xor_b64 s[20:21], s[0:1], s[6:7]
	v_cvt_f32_u32_e32 v3, s20
	v_cvt_f32_u32_e32 v10, s21
	s_sub_u32 s7, 0, s20
	s_subb_u32 s22, 0, s21
	v_mac_f32_e32 v3, 0x4f800000, v10
	v_rcp_f32_e32 v3, v3
	v_mul_f32_e32 v3, 0x5f7ffffc, v3
	v_mul_f32_e32 v10, 0x2f800000, v3
	v_trunc_f32_e32 v10, v10
	v_mac_f32_e32 v3, 0xcf800000, v10
	v_cvt_u32_f32_e32 v10, v10
	v_cvt_u32_f32_e32 v3, v3
	v_readfirstlane_b32 s23, v10
	v_readfirstlane_b32 s0, v3
	s_mul_i32 s1, s7, s23
	s_mul_hi_u32 s29, s7, s0
	s_mul_i32 s28, s22, s0
	s_add_i32 s1, s29, s1
	s_add_i32 s1, s1, s28
	s_mul_i32 s30, s7, s0
	s_mul_i32 s29, s0, s1
	s_mul_hi_u32 s31, s0, s30
	s_mul_hi_u32 s28, s0, s1
	s_add_u32 s29, s31, s29
	s_addc_u32 s28, 0, s28
	s_mul_hi_u32 s33, s23, s30
	s_mul_i32 s30, s23, s30
	s_add_u32 s29, s29, s30
	s_mul_hi_u32 s31, s23, s1
	s_addc_u32 s28, s28, s33
	s_addc_u32 s29, s31, 0
	s_mul_i32 s1, s23, s1
	s_add_u32 s1, s28, s1
	s_addc_u32 s28, 0, s29
	s_add_u32 s29, s0, s1
	s_cselect_b64 s[0:1], -1, 0
	s_cmp_lg_u64 s[0:1], 0
	s_addc_u32 s23, s23, s28
	s_mul_i32 s0, s7, s23
	s_mul_hi_u32 s1, s7, s29
	s_add_i32 s0, s1, s0
	s_mul_i32 s22, s22, s29
	s_add_i32 s0, s0, s22
	s_mul_i32 s7, s7, s29
	s_mul_hi_u32 s22, s23, s7
	s_mul_i32 s28, s23, s7
	s_mul_i32 s31, s29, s0
	s_mul_hi_u32 s7, s29, s7
	s_mul_hi_u32 s30, s29, s0
	s_add_u32 s7, s7, s31
	s_addc_u32 s30, 0, s30
	s_add_u32 s7, s7, s28
	s_mul_hi_u32 s1, s23, s0
	s_addc_u32 s7, s30, s22
	s_addc_u32 s1, s1, 0
	s_mul_i32 s0, s23, s0
	s_add_u32 s0, s7, s0
	s_addc_u32 s7, 0, s1
	s_add_u32 s22, s29, s0
	s_cselect_b64 s[0:1], -1, 0
	v_ashrrev_i32_e32 v3, 31, v9
	s_cmp_lg_u64 s[0:1], 0
	v_add_co_u32_e32 v10, vcc, v8, v3
	s_addc_u32 s7, s23, s7
	v_xor_b32_e32 v14, v10, v3
	v_mad_u64_u32 v[10:11], s[0:1], v14, s7, 0
	v_mul_hi_u32 v13, v14, s22
	v_addc_co_u32_e32 v12, vcc, v9, v3, vcc
	v_xor_b32_e32 v15, v12, v3
	v_add_co_u32_e32 v16, vcc, v13, v10
	v_addc_co_u32_e32 v17, vcc, 0, v11, vcc
	v_mad_u64_u32 v[10:11], s[0:1], v15, s22, 0
	v_mad_u64_u32 v[12:13], s[0:1], v15, s7, 0
	v_add_co_u32_e32 v10, vcc, v16, v10
	v_addc_co_u32_e32 v10, vcc, v17, v11, vcc
	v_addc_co_u32_e32 v11, vcc, 0, v13, vcc
	v_add_co_u32_e32 v12, vcc, v10, v12
	v_addc_co_u32_e32 v13, vcc, 0, v11, vcc
	v_mul_lo_u32 v16, s21, v12
	v_mul_lo_u32 v17, s20, v13
	v_mad_u64_u32 v[10:11], s[0:1], s20, v12, 0
	v_xor_b32_e32 v3, s6, v3
	v_add3_u32 v11, v11, v17, v16
	v_sub_u32_e32 v16, v15, v11
	v_mov_b32_e32 v17, s21
	v_sub_co_u32_e32 v10, vcc, v14, v10
	v_subb_co_u32_e64 v14, s[0:1], v16, v17, vcc
	v_subrev_co_u32_e64 v16, s[0:1], s20, v10
	v_subbrev_co_u32_e64 v14, s[0:1], 0, v14, s[0:1]
	v_cmp_le_u32_e64 s[0:1], s21, v14
	v_cndmask_b32_e64 v17, 0, -1, s[0:1]
	v_cmp_le_u32_e64 s[0:1], s20, v16
	v_cndmask_b32_e64 v16, 0, -1, s[0:1]
	v_cmp_eq_u32_e64 s[0:1], s21, v14
	v_cndmask_b32_e64 v14, v17, v16, s[0:1]
	v_add_co_u32_e64 v16, s[0:1], 2, v12
	v_subb_co_u32_e32 v11, vcc, v15, v11, vcc
	v_addc_co_u32_e64 v17, s[0:1], 0, v13, s[0:1]
	v_cmp_le_u32_e32 vcc, s21, v11
	v_add_co_u32_e64 v18, s[0:1], 1, v12
	v_cndmask_b32_e64 v15, 0, -1, vcc
	v_cmp_le_u32_e32 vcc, s20, v10
	v_addc_co_u32_e64 v19, s[0:1], 0, v13, s[0:1]
	v_cndmask_b32_e64 v10, 0, -1, vcc
	v_cmp_eq_u32_e32 vcc, s21, v11
	v_cmp_ne_u32_e64 s[0:1], 0, v14
	v_cndmask_b32_e32 v10, v15, v10, vcc
	v_cmp_ne_u32_e32 vcc, 0, v10
	v_cndmask_b32_e64 v11, v18, v16, s[0:1]
	v_cndmask_b32_e64 v14, v19, v17, s[0:1]
	v_cndmask_b32_e32 v11, v12, v11, vcc
	v_cndmask_b32_e32 v10, v13, v14, vcc
	v_xor_b32_e32 v11, v11, v3
	v_xor_b32_e32 v10, v10, v3
	v_sub_co_u32_e32 v12, vcc, v11, v3
	v_subb_co_u32_e32 v13, vcc, v10, v3, vcc
.LBB25_5:                               ;   in Loop: Header=BB25_3 Depth=1
	s_andn2_saveexec_b64 s[0:1], s[10:11]
	s_cbranch_execz .LBB25_7
; %bb.6:                                ;   in Loop: Header=BB25_3 Depth=1
	v_cvt_f32_u32_e32 v3, s18
	s_sub_i32 s7, 0, s18
	v_mov_b32_e32 v13, v2
	v_rcp_iflag_f32_e32 v3, v3
	v_mul_f32_e32 v3, 0x4f7ffffe, v3
	v_cvt_u32_f32_e32 v3, v3
	v_mul_lo_u32 v10, s7, v3
	v_mul_hi_u32 v10, v3, v10
	v_add_u32_e32 v3, v3, v10
	v_mul_hi_u32 v3, v7, v3
	v_mul_lo_u32 v10, v3, s18
	v_add_u32_e32 v11, 1, v3
	v_sub_u32_e32 v10, v7, v10
	v_subrev_u32_e32 v12, s18, v10
	v_cmp_le_u32_e32 vcc, s18, v10
	v_cndmask_b32_e32 v10, v10, v12, vcc
	v_cndmask_b32_e32 v3, v3, v11, vcc
	v_add_u32_e32 v11, 1, v3
	v_cmp_le_u32_e32 vcc, s18, v10
	v_cndmask_b32_e32 v12, v3, v11, vcc
.LBB25_7:                               ;   in Loop: Header=BB25_3 Depth=1
	s_or_b64 exec, exec, s[0:1]
	v_or_b32_e32 v3, s17, v13
	v_cmp_ne_u64_e32 vcc, 0, v[2:3]
                                        ; implicit-def: $vgpr10_vgpr11
	s_and_saveexec_b64 s[0:1], vcc
	s_xor_b64 s[10:11], exec, s[0:1]
	s_cbranch_execz .LBB25_9
; %bb.8:                                ;   in Loop: Header=BB25_3 Depth=1
	s_ashr_i32 s20, s17, 31
	s_add_u32 s0, s16, s20
	s_mov_b32 s21, s20
	s_addc_u32 s1, s17, s20
	s_xor_b64 s[22:23], s[0:1], s[20:21]
	v_cvt_f32_u32_e32 v3, s22
	v_cvt_f32_u32_e32 v10, s23
	s_sub_u32 s7, 0, s22
	s_subb_u32 s21, 0, s23
	v_mac_f32_e32 v3, 0x4f800000, v10
	v_rcp_f32_e32 v3, v3
	v_mul_f32_e32 v3, 0x5f7ffffc, v3
	v_mul_f32_e32 v10, 0x2f800000, v3
	v_trunc_f32_e32 v10, v10
	v_mac_f32_e32 v3, 0xcf800000, v10
	v_cvt_u32_f32_e32 v10, v10
	v_cvt_u32_f32_e32 v3, v3
	v_readfirstlane_b32 s28, v10
	v_readfirstlane_b32 s0, v3
	s_mul_i32 s1, s7, s28
	s_mul_hi_u32 s30, s7, s0
	s_mul_i32 s29, s21, s0
	s_add_i32 s1, s30, s1
	s_add_i32 s1, s1, s29
	s_mul_i32 s31, s7, s0
	s_mul_i32 s30, s0, s1
	s_mul_hi_u32 s33, s0, s31
	s_mul_hi_u32 s29, s0, s1
	s_add_u32 s30, s33, s30
	s_addc_u32 s29, 0, s29
	s_mul_hi_u32 s34, s28, s31
	s_mul_i32 s31, s28, s31
	s_add_u32 s30, s30, s31
	s_mul_hi_u32 s33, s28, s1
	s_addc_u32 s29, s29, s34
	s_addc_u32 s30, s33, 0
	s_mul_i32 s1, s28, s1
	s_add_u32 s1, s29, s1
	s_addc_u32 s29, 0, s30
	s_add_u32 s30, s0, s1
	s_cselect_b64 s[0:1], -1, 0
	s_cmp_lg_u64 s[0:1], 0
	s_addc_u32 s28, s28, s29
	s_mul_i32 s0, s7, s28
	s_mul_hi_u32 s1, s7, s30
	s_add_i32 s0, s1, s0
	s_mul_i32 s21, s21, s30
	s_add_i32 s0, s0, s21
	s_mul_i32 s7, s7, s30
	s_mul_hi_u32 s21, s28, s7
	s_mul_i32 s29, s28, s7
	s_mul_i32 s33, s30, s0
	s_mul_hi_u32 s7, s30, s7
	s_mul_hi_u32 s31, s30, s0
	s_add_u32 s7, s7, s33
	s_addc_u32 s31, 0, s31
	s_add_u32 s7, s7, s29
	s_mul_hi_u32 s1, s28, s0
	s_addc_u32 s7, s31, s21
	s_addc_u32 s1, s1, 0
	s_mul_i32 s0, s28, s0
	s_add_u32 s0, s7, s0
	s_addc_u32 s7, 0, s1
	s_add_u32 s21, s30, s0
	s_cselect_b64 s[0:1], -1, 0
	v_ashrrev_i32_e32 v3, 31, v13
	s_cmp_lg_u64 s[0:1], 0
	v_add_co_u32_e32 v10, vcc, v12, v3
	s_addc_u32 s7, s28, s7
	v_xor_b32_e32 v14, v10, v3
	v_addc_co_u32_e32 v12, vcc, v13, v3, vcc
	v_mad_u64_u32 v[10:11], s[0:1], v14, s7, 0
	v_mul_hi_u32 v13, v14, s21
	v_xor_b32_e32 v15, v12, v3
	v_xor_b32_e32 v3, s20, v3
	v_add_co_u32_e32 v16, vcc, v13, v10
	v_addc_co_u32_e32 v17, vcc, 0, v11, vcc
	v_mad_u64_u32 v[10:11], s[0:1], v15, s21, 0
	v_mad_u64_u32 v[12:13], s[0:1], v15, s7, 0
	v_add_co_u32_e32 v10, vcc, v16, v10
	v_addc_co_u32_e32 v10, vcc, v17, v11, vcc
	v_addc_co_u32_e32 v11, vcc, 0, v13, vcc
	v_add_co_u32_e32 v12, vcc, v10, v12
	v_addc_co_u32_e32 v13, vcc, 0, v11, vcc
	v_mul_lo_u32 v16, s23, v12
	v_mul_lo_u32 v17, s22, v13
	v_mad_u64_u32 v[10:11], s[0:1], s22, v12, 0
	v_add3_u32 v11, v11, v17, v16
	v_sub_u32_e32 v16, v15, v11
	v_mov_b32_e32 v17, s23
	v_sub_co_u32_e32 v10, vcc, v14, v10
	v_subb_co_u32_e64 v14, s[0:1], v16, v17, vcc
	v_subrev_co_u32_e64 v16, s[0:1], s22, v10
	v_subbrev_co_u32_e64 v14, s[0:1], 0, v14, s[0:1]
	v_cmp_le_u32_e64 s[0:1], s23, v14
	v_cndmask_b32_e64 v17, 0, -1, s[0:1]
	v_cmp_le_u32_e64 s[0:1], s22, v16
	v_cndmask_b32_e64 v16, 0, -1, s[0:1]
	v_cmp_eq_u32_e64 s[0:1], s23, v14
	v_cndmask_b32_e64 v14, v17, v16, s[0:1]
	v_add_co_u32_e64 v16, s[0:1], 2, v12
	v_subb_co_u32_e32 v11, vcc, v15, v11, vcc
	v_addc_co_u32_e64 v17, s[0:1], 0, v13, s[0:1]
	v_cmp_le_u32_e32 vcc, s23, v11
	v_add_co_u32_e64 v18, s[0:1], 1, v12
	v_cndmask_b32_e64 v15, 0, -1, vcc
	v_cmp_le_u32_e32 vcc, s22, v10
	v_addc_co_u32_e64 v19, s[0:1], 0, v13, s[0:1]
	v_cndmask_b32_e64 v10, 0, -1, vcc
	v_cmp_eq_u32_e32 vcc, s23, v11
	v_cmp_ne_u32_e64 s[0:1], 0, v14
	v_cndmask_b32_e32 v10, v15, v10, vcc
	v_cndmask_b32_e64 v14, v19, v17, s[0:1]
	v_cmp_ne_u32_e32 vcc, 0, v10
	v_cndmask_b32_e64 v11, v18, v16, s[0:1]
	v_cndmask_b32_e32 v10, v13, v14, vcc
	v_cndmask_b32_e32 v11, v12, v11, vcc
	v_xor_b32_e32 v12, v10, v3
	v_xor_b32_e32 v10, v11, v3
	v_sub_co_u32_e32 v10, vcc, v10, v3
	v_subb_co_u32_e32 v11, vcc, v12, v3, vcc
                                        ; implicit-def: $vgpr12_vgpr13
.LBB25_9:                               ;   in Loop: Header=BB25_3 Depth=1
	s_andn2_saveexec_b64 s[0:1], s[10:11]
	s_cbranch_execz .LBB25_11
; %bb.10:                               ;   in Loop: Header=BB25_3 Depth=1
	v_cvt_f32_u32_e32 v3, s16
	s_sub_i32 s7, 0, s16
	v_rcp_iflag_f32_e32 v3, v3
	v_mul_f32_e32 v3, 0x4f7ffffe, v3
	v_cvt_u32_f32_e32 v3, v3
	v_mul_lo_u32 v10, s7, v3
	v_mul_hi_u32 v10, v3, v10
	v_add_u32_e32 v3, v3, v10
	v_mul_hi_u32 v3, v12, v3
	v_mul_lo_u32 v10, v3, s16
	v_add_u32_e32 v11, 1, v3
	v_sub_u32_e32 v10, v12, v10
	v_subrev_u32_e32 v12, s16, v10
	v_cmp_le_u32_e32 vcc, s16, v10
	v_cndmask_b32_e32 v10, v10, v12, vcc
	v_cndmask_b32_e32 v3, v3, v11, vcc
	v_add_u32_e32 v11, 1, v3
	v_cmp_le_u32_e32 vcc, s16, v10
	v_cndmask_b32_e32 v10, v3, v11, vcc
	v_mov_b32_e32 v11, v2
.LBB25_11:                              ;   in Loop: Header=BB25_3 Depth=1
	s_or_b64 exec, exec, s[0:1]
	v_or_b32_e32 v3, s15, v11
	v_cmp_ne_u64_e32 vcc, 0, v[2:3]
                                        ; implicit-def: $vgpr12_vgpr13
	s_and_saveexec_b64 s[0:1], vcc
	s_xor_b64 s[10:11], exec, s[0:1]
	s_cbranch_execz .LBB25_13
; %bb.12:                               ;   in Loop: Header=BB25_3 Depth=1
	s_ashr_i32 s20, s15, 31
	s_add_u32 s0, s14, s20
	s_mov_b32 s21, s20
	s_addc_u32 s1, s15, s20
	s_xor_b64 s[22:23], s[0:1], s[20:21]
	v_cvt_f32_u32_e32 v3, s22
	v_cvt_f32_u32_e32 v12, s23
	s_sub_u32 s7, 0, s22
	s_subb_u32 s21, 0, s23
	v_mac_f32_e32 v3, 0x4f800000, v12
	v_rcp_f32_e32 v3, v3
	v_mul_f32_e32 v3, 0x5f7ffffc, v3
	v_mul_f32_e32 v12, 0x2f800000, v3
	v_trunc_f32_e32 v12, v12
	v_mac_f32_e32 v3, 0xcf800000, v12
	v_cvt_u32_f32_e32 v12, v12
	v_cvt_u32_f32_e32 v3, v3
	v_readfirstlane_b32 s28, v12
	v_readfirstlane_b32 s0, v3
	s_mul_i32 s1, s7, s28
	s_mul_hi_u32 s30, s7, s0
	s_mul_i32 s29, s21, s0
	s_add_i32 s1, s30, s1
	s_add_i32 s1, s1, s29
	s_mul_i32 s31, s7, s0
	s_mul_i32 s30, s0, s1
	s_mul_hi_u32 s33, s0, s31
	s_mul_hi_u32 s29, s0, s1
	s_add_u32 s30, s33, s30
	s_addc_u32 s29, 0, s29
	s_mul_hi_u32 s34, s28, s31
	s_mul_i32 s31, s28, s31
	s_add_u32 s30, s30, s31
	s_mul_hi_u32 s33, s28, s1
	s_addc_u32 s29, s29, s34
	s_addc_u32 s30, s33, 0
	s_mul_i32 s1, s28, s1
	s_add_u32 s1, s29, s1
	s_addc_u32 s29, 0, s30
	s_add_u32 s30, s0, s1
	s_cselect_b64 s[0:1], -1, 0
	s_cmp_lg_u64 s[0:1], 0
	s_addc_u32 s28, s28, s29
	s_mul_i32 s0, s7, s28
	s_mul_hi_u32 s1, s7, s30
	s_add_i32 s0, s1, s0
	s_mul_i32 s21, s21, s30
	s_add_i32 s0, s0, s21
	s_mul_i32 s7, s7, s30
	s_mul_hi_u32 s21, s28, s7
	s_mul_i32 s29, s28, s7
	s_mul_i32 s33, s30, s0
	s_mul_hi_u32 s7, s30, s7
	s_mul_hi_u32 s31, s30, s0
	s_add_u32 s7, s7, s33
	s_addc_u32 s31, 0, s31
	s_add_u32 s7, s7, s29
	s_mul_hi_u32 s1, s28, s0
	s_addc_u32 s7, s31, s21
	s_addc_u32 s1, s1, 0
	s_mul_i32 s0, s28, s0
	s_add_u32 s0, s7, s0
	s_addc_u32 s7, 0, s1
	s_add_u32 s21, s30, s0
	s_cselect_b64 s[0:1], -1, 0
	v_ashrrev_i32_e32 v3, 31, v11
	s_cmp_lg_u64 s[0:1], 0
	v_add_co_u32_e32 v12, vcc, v10, v3
	s_addc_u32 s7, s28, s7
	v_xor_b32_e32 v15, v12, v3
	v_addc_co_u32_e32 v13, vcc, v11, v3, vcc
	v_mad_u64_u32 v[11:12], s[0:1], v15, s7, 0
	v_mul_hi_u32 v14, v15, s21
	v_xor_b32_e32 v16, v13, v3
	v_xor_b32_e32 v3, s20, v3
	v_add_co_u32_e32 v17, vcc, v14, v11
	v_addc_co_u32_e32 v18, vcc, 0, v12, vcc
	v_mad_u64_u32 v[11:12], s[0:1], v16, s21, 0
	v_mad_u64_u32 v[13:14], s[0:1], v16, s7, 0
	v_add_co_u32_e32 v11, vcc, v17, v11
	v_addc_co_u32_e32 v11, vcc, v18, v12, vcc
	v_addc_co_u32_e32 v12, vcc, 0, v14, vcc
	v_add_co_u32_e32 v13, vcc, v11, v13
	v_addc_co_u32_e32 v11, vcc, 0, v12, vcc
	v_mul_lo_u32 v14, s23, v13
	v_mul_lo_u32 v17, s22, v11
	v_mad_u64_u32 v[11:12], s[0:1], s22, v13, 0
	v_add3_u32 v12, v12, v17, v14
	v_sub_u32_e32 v14, v16, v12
	v_mov_b32_e32 v17, s23
	v_sub_co_u32_e32 v11, vcc, v15, v11
	v_subb_co_u32_e64 v14, s[0:1], v14, v17, vcc
	v_subrev_co_u32_e64 v15, s[0:1], s22, v11
	v_subbrev_co_u32_e64 v14, s[0:1], 0, v14, s[0:1]
	v_cmp_le_u32_e64 s[0:1], s23, v14
	v_subb_co_u32_e32 v12, vcc, v16, v12, vcc
	v_cndmask_b32_e64 v17, 0, -1, s[0:1]
	v_cmp_le_u32_e64 s[0:1], s22, v15
	v_cmp_le_u32_e32 vcc, s23, v12
	v_cndmask_b32_e64 v15, 0, -1, s[0:1]
	v_cmp_eq_u32_e64 s[0:1], s23, v14
	v_cndmask_b32_e64 v16, 0, -1, vcc
	v_cmp_le_u32_e32 vcc, s22, v11
	v_cndmask_b32_e64 v14, v17, v15, s[0:1]
	v_cndmask_b32_e64 v11, 0, -1, vcc
	v_cmp_eq_u32_e32 vcc, s23, v12
	v_add_co_u32_e64 v15, s[0:1], 2, v13
	v_add_co_u32_e64 v17, s[0:1], 1, v13
	v_cndmask_b32_e32 v11, v16, v11, vcc
	v_cmp_ne_u32_e32 vcc, 0, v14
	v_cndmask_b32_e32 v12, v17, v15, vcc
	v_cmp_ne_u32_e32 vcc, 0, v11
	v_cndmask_b32_e32 v11, v13, v12, vcc
	v_xor_b32_e32 v11, v11, v3
	v_sub_co_u32_e32 v12, vcc, v11, v3
.LBB25_13:                              ;   in Loop: Header=BB25_3 Depth=1
	s_andn2_saveexec_b64 s[0:1], s[10:11]
	s_cbranch_execz .LBB25_2
; %bb.14:                               ;   in Loop: Header=BB25_3 Depth=1
	v_cvt_f32_u32_e32 v3, s14
	s_sub_i32 s7, 0, s14
	v_rcp_iflag_f32_e32 v3, v3
	v_mul_f32_e32 v3, 0x4f7ffffe, v3
	v_cvt_u32_f32_e32 v3, v3
	v_mul_lo_u32 v11, s7, v3
	v_mul_hi_u32 v11, v3, v11
	v_add_u32_e32 v3, v3, v11
	v_mul_hi_u32 v3, v10, v3
	v_mul_lo_u32 v11, v3, s14
	v_add_u32_e32 v12, 1, v3
	v_sub_u32_e32 v11, v10, v11
	v_subrev_u32_e32 v13, s14, v11
	v_cmp_le_u32_e32 vcc, s14, v11
	v_cndmask_b32_e32 v11, v11, v13, vcc
	v_cndmask_b32_e32 v3, v3, v12, vcc
	v_add_u32_e32 v12, 1, v3
	v_cmp_le_u32_e32 vcc, s14, v11
	v_cndmask_b32_e32 v12, v3, v12, vcc
	s_branch .LBB25_2
.LBB25_15:
	s_endpgm
	.section	.rodata,"a",@progbits
	.p2align	6, 0x0
	.amdhsa_kernel _ZN2at6native31max_unpooling2d_backward_kernelIN3c104HalfEEEvlPKT_PKllllllPS4_
		.amdhsa_group_segment_fixed_size 0
		.amdhsa_private_segment_fixed_size 0
		.amdhsa_kernarg_size 328
		.amdhsa_user_sgpr_count 6
		.amdhsa_user_sgpr_private_segment_buffer 1
		.amdhsa_user_sgpr_dispatch_ptr 0
		.amdhsa_user_sgpr_queue_ptr 0
		.amdhsa_user_sgpr_kernarg_segment_ptr 1
		.amdhsa_user_sgpr_dispatch_id 0
		.amdhsa_user_sgpr_flat_scratch_init 0
		.amdhsa_user_sgpr_private_segment_size 0
		.amdhsa_uses_dynamic_stack 0
		.amdhsa_system_sgpr_private_segment_wavefront_offset 0
		.amdhsa_system_sgpr_workgroup_id_x 1
		.amdhsa_system_sgpr_workgroup_id_y 0
		.amdhsa_system_sgpr_workgroup_id_z 0
		.amdhsa_system_sgpr_workgroup_info 0
		.amdhsa_system_vgpr_workitem_id 0
		.amdhsa_next_free_vgpr 20
		.amdhsa_next_free_sgpr 35
		.amdhsa_reserve_vcc 1
		.amdhsa_reserve_flat_scratch 0
		.amdhsa_float_round_mode_32 0
		.amdhsa_float_round_mode_16_64 0
		.amdhsa_float_denorm_mode_32 3
		.amdhsa_float_denorm_mode_16_64 3
		.amdhsa_dx10_clamp 1
		.amdhsa_ieee_mode 1
		.amdhsa_fp16_overflow 0
		.amdhsa_exception_fp_ieee_invalid_op 0
		.amdhsa_exception_fp_denorm_src 0
		.amdhsa_exception_fp_ieee_div_zero 0
		.amdhsa_exception_fp_ieee_overflow 0
		.amdhsa_exception_fp_ieee_underflow 0
		.amdhsa_exception_fp_ieee_inexact 0
		.amdhsa_exception_int_div_zero 0
	.end_amdhsa_kernel
	.section	.text._ZN2at6native31max_unpooling2d_backward_kernelIN3c104HalfEEEvlPKT_PKllllllPS4_,"axG",@progbits,_ZN2at6native31max_unpooling2d_backward_kernelIN3c104HalfEEEvlPKT_PKllllllPS4_,comdat
.Lfunc_end25:
	.size	_ZN2at6native31max_unpooling2d_backward_kernelIN3c104HalfEEEvlPKT_PKllllllPS4_, .Lfunc_end25-_ZN2at6native31max_unpooling2d_backward_kernelIN3c104HalfEEEvlPKT_PKllllllPS4_
                                        ; -- End function
	.set _ZN2at6native31max_unpooling2d_backward_kernelIN3c104HalfEEEvlPKT_PKllllllPS4_.num_vgpr, 20
	.set _ZN2at6native31max_unpooling2d_backward_kernelIN3c104HalfEEEvlPKT_PKllllllPS4_.num_agpr, 0
	.set _ZN2at6native31max_unpooling2d_backward_kernelIN3c104HalfEEEvlPKT_PKllllllPS4_.numbered_sgpr, 35
	.set _ZN2at6native31max_unpooling2d_backward_kernelIN3c104HalfEEEvlPKT_PKllllllPS4_.num_named_barrier, 0
	.set _ZN2at6native31max_unpooling2d_backward_kernelIN3c104HalfEEEvlPKT_PKllllllPS4_.private_seg_size, 0
	.set _ZN2at6native31max_unpooling2d_backward_kernelIN3c104HalfEEEvlPKT_PKllllllPS4_.uses_vcc, 1
	.set _ZN2at6native31max_unpooling2d_backward_kernelIN3c104HalfEEEvlPKT_PKllllllPS4_.uses_flat_scratch, 0
	.set _ZN2at6native31max_unpooling2d_backward_kernelIN3c104HalfEEEvlPKT_PKllllllPS4_.has_dyn_sized_stack, 0
	.set _ZN2at6native31max_unpooling2d_backward_kernelIN3c104HalfEEEvlPKT_PKllllllPS4_.has_recursion, 0
	.set _ZN2at6native31max_unpooling2d_backward_kernelIN3c104HalfEEEvlPKT_PKllllllPS4_.has_indirect_call, 0
	.section	.AMDGPU.csdata,"",@progbits
; Kernel info:
; codeLenInByte = 2560
; TotalNumSgprs: 39
; NumVgprs: 20
; ScratchSize: 0
; MemoryBound: 0
; FloatMode: 240
; IeeeMode: 1
; LDSByteSize: 0 bytes/workgroup (compile time only)
; SGPRBlocks: 4
; VGPRBlocks: 4
; NumSGPRsForWavesPerEU: 39
; NumVGPRsForWavesPerEU: 20
; Occupancy: 10
; WaveLimiterHint : 1
; COMPUTE_PGM_RSRC2:SCRATCH_EN: 0
; COMPUTE_PGM_RSRC2:USER_SGPR: 6
; COMPUTE_PGM_RSRC2:TRAP_HANDLER: 0
; COMPUTE_PGM_RSRC2:TGID_X_EN: 1
; COMPUTE_PGM_RSRC2:TGID_Y_EN: 0
; COMPUTE_PGM_RSRC2:TGID_Z_EN: 0
; COMPUTE_PGM_RSRC2:TIDIG_COMP_CNT: 0
	.section	.text._ZN2at6native31max_unpooling2d_backward_kernelIN3c108BFloat16EEEvlPKT_PKllllllPS4_,"axG",@progbits,_ZN2at6native31max_unpooling2d_backward_kernelIN3c108BFloat16EEEvlPKT_PKllllllPS4_,comdat
	.protected	_ZN2at6native31max_unpooling2d_backward_kernelIN3c108BFloat16EEEvlPKT_PKllllllPS4_ ; -- Begin function _ZN2at6native31max_unpooling2d_backward_kernelIN3c108BFloat16EEEvlPKT_PKllllllPS4_
	.globl	_ZN2at6native31max_unpooling2d_backward_kernelIN3c108BFloat16EEEvlPKT_PKllllllPS4_
	.p2align	8
	.type	_ZN2at6native31max_unpooling2d_backward_kernelIN3c108BFloat16EEEvlPKT_PKllllllPS4_,@function
_ZN2at6native31max_unpooling2d_backward_kernelIN3c108BFloat16EEEvlPKT_PKllllllPS4_: ; @_ZN2at6native31max_unpooling2d_backward_kernelIN3c108BFloat16EEEvlPKT_PKllllllPS4_
; %bb.0:
	s_load_dword s2, s[4:5], 0x54
	s_load_dwordx16 s[8:23], s[4:5], 0x0
	s_add_u32 s0, s4, 0x48
	v_mov_b32_e32 v2, 0
	s_addc_u32 s1, s5, 0
	s_waitcnt lgkmcnt(0)
	s_and_b32 s7, s2, 0xffff
	v_mov_b32_e32 v1, v2
	v_mov_b32_e32 v3, s6
	v_mad_u64_u32 v[0:1], s[2:3], s7, v3, v[0:1]
	v_cmp_gt_i64_e32 vcc, s[8:9], v[0:1]
	s_and_saveexec_b64 s[2:3], vcc
	s_cbranch_execz .LBB26_15
; %bb.1:
	s_load_dwordx2 s[2:3], s[4:5], 0x40
	s_load_dword s6, s[0:1], 0x0
	s_mul_i32 s0, s22, s21
	s_mul_hi_u32 s1, s22, s20
	v_mov_b32_e32 v3, v0
	s_add_i32 s0, s1, s0
	s_mul_i32 s1, s23, s20
	s_waitcnt lgkmcnt(0)
	s_mul_i32 s26, s6, s7
	v_mov_b32_e32 v4, s10
	v_mov_b32_e32 v7, v3
	s_add_i32 s24, s0, s1
	s_mul_i32 s25, s22, s20
	s_mov_b32 s27, s26
	s_mov_b64 s[4:5], 0
	v_mov_b32_e32 v5, s11
	s_ashr_i32 s6, s19, 31
	v_mov_b32_e32 v6, v2
	s_branch .LBB26_3
.LBB26_2:                               ;   in Loop: Header=BB26_3 Depth=1
	s_or_b64 exec, exec, s[0:1]
	v_lshlrev_b64 v[13:14], 3, v[8:9]
	v_mov_b32_e32 v3, s13
	v_add_co_u32_e32 v13, vcc, s12, v13
	v_addc_co_u32_e32 v14, vcc, v3, v14, vcc
	global_load_dword v3, v[13:14], off
	v_mul_lo_u32 v11, v12, s14
	v_ashrrev_i32_e32 v13, 31, v12
	v_mul_lo_u32 v14, v12, s15
	v_mul_lo_u32 v13, v13, s14
	v_sub_u32_e32 v10, v10, v11
	v_ashrrev_i32_e32 v11, 31, v10
	v_mad_u64_u32 v[10:11], s[0:1], v12, s14, v[10:11]
	v_lshlrev_b64 v[8:9], 1, v[8:9]
	v_add3_u32 v12, v13, v11, v14
	v_mul_lo_u32 v13, s24, v10
	v_mad_u64_u32 v[10:11], s[0:1], s25, v10, 0
	v_mul_lo_u32 v12, s25, v12
	v_add_co_u32_e64 v8, s[0:1], s2, v8
	v_add3_u32 v11, v11, v12, v13
	v_lshlrev_b64 v[10:11], 1, v[10:11]
	v_add_co_u32_e32 v4, vcc, v4, v10
	v_addc_co_u32_e32 v5, vcc, v5, v11, vcc
	s_waitcnt vmcnt(0)
	v_ashrrev_i64 v[10:11], 31, v[2:3]
	v_add_co_u32_e32 v10, vcc, v4, v10
	v_addc_co_u32_e32 v11, vcc, v5, v11, vcc
	global_load_ushort v3, v[10:11], off
	v_add_co_u32_e32 v0, vcc, s26, v0
	v_addc_co_u32_e32 v1, vcc, 0, v1, vcc
	v_cmp_le_i64_e32 vcc, s[8:9], v[0:1]
	v_mov_b32_e32 v10, s3
	v_mov_b32_e32 v11, s27
	s_or_b64 s[4:5], vcc, s[4:5]
	v_add_co_u32_e32 v6, vcc, 0, v6
	v_addc_co_u32_e64 v9, s[0:1], v10, v9, s[0:1]
	v_addc_co_u32_e32 v7, vcc, v7, v11, vcc
	s_waitcnt vmcnt(0)
	global_store_short v[8:9], v3, off
	s_andn2_b64 exec, exec, s[4:5]
	s_cbranch_execz .LBB26_15
.LBB26_3:                               ; =>This Inner Loop Header: Depth=1
	v_ashrrev_i32_e32 v9, 31, v7
	v_or_b32_e32 v3, s19, v9
	v_cmp_ne_u64_e32 vcc, 0, v[2:3]
	v_mov_b32_e32 v8, v7
                                        ; implicit-def: $vgpr12_vgpr13
	s_and_saveexec_b64 s[0:1], vcc
	s_xor_b64 s[10:11], exec, s[0:1]
	s_cbranch_execz .LBB26_5
; %bb.4:                                ;   in Loop: Header=BB26_3 Depth=1
	s_add_u32 s0, s18, s6
	s_mov_b32 s7, s6
	s_addc_u32 s1, s19, s6
	s_xor_b64 s[20:21], s[0:1], s[6:7]
	v_cvt_f32_u32_e32 v3, s20
	v_cvt_f32_u32_e32 v10, s21
	s_sub_u32 s7, 0, s20
	s_subb_u32 s22, 0, s21
	v_mac_f32_e32 v3, 0x4f800000, v10
	v_rcp_f32_e32 v3, v3
	v_mul_f32_e32 v3, 0x5f7ffffc, v3
	v_mul_f32_e32 v10, 0x2f800000, v3
	v_trunc_f32_e32 v10, v10
	v_mac_f32_e32 v3, 0xcf800000, v10
	v_cvt_u32_f32_e32 v10, v10
	v_cvt_u32_f32_e32 v3, v3
	v_readfirstlane_b32 s23, v10
	v_readfirstlane_b32 s0, v3
	s_mul_i32 s1, s7, s23
	s_mul_hi_u32 s29, s7, s0
	s_mul_i32 s28, s22, s0
	s_add_i32 s1, s29, s1
	s_add_i32 s1, s1, s28
	s_mul_i32 s30, s7, s0
	s_mul_i32 s29, s0, s1
	s_mul_hi_u32 s31, s0, s30
	s_mul_hi_u32 s28, s0, s1
	s_add_u32 s29, s31, s29
	s_addc_u32 s28, 0, s28
	s_mul_hi_u32 s33, s23, s30
	s_mul_i32 s30, s23, s30
	s_add_u32 s29, s29, s30
	s_mul_hi_u32 s31, s23, s1
	s_addc_u32 s28, s28, s33
	s_addc_u32 s29, s31, 0
	s_mul_i32 s1, s23, s1
	s_add_u32 s1, s28, s1
	s_addc_u32 s28, 0, s29
	s_add_u32 s29, s0, s1
	s_cselect_b64 s[0:1], -1, 0
	s_cmp_lg_u64 s[0:1], 0
	s_addc_u32 s23, s23, s28
	s_mul_i32 s0, s7, s23
	s_mul_hi_u32 s1, s7, s29
	s_add_i32 s0, s1, s0
	s_mul_i32 s22, s22, s29
	s_add_i32 s0, s0, s22
	s_mul_i32 s7, s7, s29
	s_mul_hi_u32 s22, s23, s7
	s_mul_i32 s28, s23, s7
	s_mul_i32 s31, s29, s0
	s_mul_hi_u32 s7, s29, s7
	s_mul_hi_u32 s30, s29, s0
	s_add_u32 s7, s7, s31
	s_addc_u32 s30, 0, s30
	s_add_u32 s7, s7, s28
	s_mul_hi_u32 s1, s23, s0
	s_addc_u32 s7, s30, s22
	s_addc_u32 s1, s1, 0
	s_mul_i32 s0, s23, s0
	s_add_u32 s0, s7, s0
	s_addc_u32 s7, 0, s1
	s_add_u32 s22, s29, s0
	s_cselect_b64 s[0:1], -1, 0
	v_ashrrev_i32_e32 v3, 31, v9
	s_cmp_lg_u64 s[0:1], 0
	v_add_co_u32_e32 v10, vcc, v8, v3
	s_addc_u32 s7, s23, s7
	v_xor_b32_e32 v14, v10, v3
	v_mad_u64_u32 v[10:11], s[0:1], v14, s7, 0
	v_mul_hi_u32 v13, v14, s22
	v_addc_co_u32_e32 v12, vcc, v9, v3, vcc
	v_xor_b32_e32 v15, v12, v3
	v_add_co_u32_e32 v16, vcc, v13, v10
	v_addc_co_u32_e32 v17, vcc, 0, v11, vcc
	v_mad_u64_u32 v[10:11], s[0:1], v15, s22, 0
	v_mad_u64_u32 v[12:13], s[0:1], v15, s7, 0
	v_add_co_u32_e32 v10, vcc, v16, v10
	v_addc_co_u32_e32 v10, vcc, v17, v11, vcc
	v_addc_co_u32_e32 v11, vcc, 0, v13, vcc
	v_add_co_u32_e32 v12, vcc, v10, v12
	v_addc_co_u32_e32 v13, vcc, 0, v11, vcc
	v_mul_lo_u32 v16, s21, v12
	v_mul_lo_u32 v17, s20, v13
	v_mad_u64_u32 v[10:11], s[0:1], s20, v12, 0
	v_xor_b32_e32 v3, s6, v3
	v_add3_u32 v11, v11, v17, v16
	v_sub_u32_e32 v16, v15, v11
	v_mov_b32_e32 v17, s21
	v_sub_co_u32_e32 v10, vcc, v14, v10
	v_subb_co_u32_e64 v14, s[0:1], v16, v17, vcc
	v_subrev_co_u32_e64 v16, s[0:1], s20, v10
	v_subbrev_co_u32_e64 v14, s[0:1], 0, v14, s[0:1]
	v_cmp_le_u32_e64 s[0:1], s21, v14
	v_cndmask_b32_e64 v17, 0, -1, s[0:1]
	v_cmp_le_u32_e64 s[0:1], s20, v16
	v_cndmask_b32_e64 v16, 0, -1, s[0:1]
	v_cmp_eq_u32_e64 s[0:1], s21, v14
	v_cndmask_b32_e64 v14, v17, v16, s[0:1]
	v_add_co_u32_e64 v16, s[0:1], 2, v12
	v_subb_co_u32_e32 v11, vcc, v15, v11, vcc
	v_addc_co_u32_e64 v17, s[0:1], 0, v13, s[0:1]
	v_cmp_le_u32_e32 vcc, s21, v11
	v_add_co_u32_e64 v18, s[0:1], 1, v12
	v_cndmask_b32_e64 v15, 0, -1, vcc
	v_cmp_le_u32_e32 vcc, s20, v10
	v_addc_co_u32_e64 v19, s[0:1], 0, v13, s[0:1]
	v_cndmask_b32_e64 v10, 0, -1, vcc
	v_cmp_eq_u32_e32 vcc, s21, v11
	v_cmp_ne_u32_e64 s[0:1], 0, v14
	v_cndmask_b32_e32 v10, v15, v10, vcc
	v_cmp_ne_u32_e32 vcc, 0, v10
	v_cndmask_b32_e64 v11, v18, v16, s[0:1]
	v_cndmask_b32_e64 v14, v19, v17, s[0:1]
	v_cndmask_b32_e32 v11, v12, v11, vcc
	v_cndmask_b32_e32 v10, v13, v14, vcc
	v_xor_b32_e32 v11, v11, v3
	v_xor_b32_e32 v10, v10, v3
	v_sub_co_u32_e32 v12, vcc, v11, v3
	v_subb_co_u32_e32 v13, vcc, v10, v3, vcc
.LBB26_5:                               ;   in Loop: Header=BB26_3 Depth=1
	s_andn2_saveexec_b64 s[0:1], s[10:11]
	s_cbranch_execz .LBB26_7
; %bb.6:                                ;   in Loop: Header=BB26_3 Depth=1
	v_cvt_f32_u32_e32 v3, s18
	s_sub_i32 s7, 0, s18
	v_mov_b32_e32 v13, v2
	v_rcp_iflag_f32_e32 v3, v3
	v_mul_f32_e32 v3, 0x4f7ffffe, v3
	v_cvt_u32_f32_e32 v3, v3
	v_mul_lo_u32 v10, s7, v3
	v_mul_hi_u32 v10, v3, v10
	v_add_u32_e32 v3, v3, v10
	v_mul_hi_u32 v3, v7, v3
	v_mul_lo_u32 v10, v3, s18
	v_add_u32_e32 v11, 1, v3
	v_sub_u32_e32 v10, v7, v10
	v_subrev_u32_e32 v12, s18, v10
	v_cmp_le_u32_e32 vcc, s18, v10
	v_cndmask_b32_e32 v10, v10, v12, vcc
	v_cndmask_b32_e32 v3, v3, v11, vcc
	v_add_u32_e32 v11, 1, v3
	v_cmp_le_u32_e32 vcc, s18, v10
	v_cndmask_b32_e32 v12, v3, v11, vcc
.LBB26_7:                               ;   in Loop: Header=BB26_3 Depth=1
	s_or_b64 exec, exec, s[0:1]
	v_or_b32_e32 v3, s17, v13
	v_cmp_ne_u64_e32 vcc, 0, v[2:3]
                                        ; implicit-def: $vgpr10_vgpr11
	s_and_saveexec_b64 s[0:1], vcc
	s_xor_b64 s[10:11], exec, s[0:1]
	s_cbranch_execz .LBB26_9
; %bb.8:                                ;   in Loop: Header=BB26_3 Depth=1
	s_ashr_i32 s20, s17, 31
	s_add_u32 s0, s16, s20
	s_mov_b32 s21, s20
	s_addc_u32 s1, s17, s20
	s_xor_b64 s[22:23], s[0:1], s[20:21]
	v_cvt_f32_u32_e32 v3, s22
	v_cvt_f32_u32_e32 v10, s23
	s_sub_u32 s7, 0, s22
	s_subb_u32 s21, 0, s23
	v_mac_f32_e32 v3, 0x4f800000, v10
	v_rcp_f32_e32 v3, v3
	v_mul_f32_e32 v3, 0x5f7ffffc, v3
	v_mul_f32_e32 v10, 0x2f800000, v3
	v_trunc_f32_e32 v10, v10
	v_mac_f32_e32 v3, 0xcf800000, v10
	v_cvt_u32_f32_e32 v10, v10
	v_cvt_u32_f32_e32 v3, v3
	v_readfirstlane_b32 s28, v10
	v_readfirstlane_b32 s0, v3
	s_mul_i32 s1, s7, s28
	s_mul_hi_u32 s30, s7, s0
	s_mul_i32 s29, s21, s0
	s_add_i32 s1, s30, s1
	s_add_i32 s1, s1, s29
	s_mul_i32 s31, s7, s0
	s_mul_i32 s30, s0, s1
	s_mul_hi_u32 s33, s0, s31
	s_mul_hi_u32 s29, s0, s1
	s_add_u32 s30, s33, s30
	s_addc_u32 s29, 0, s29
	s_mul_hi_u32 s34, s28, s31
	s_mul_i32 s31, s28, s31
	s_add_u32 s30, s30, s31
	s_mul_hi_u32 s33, s28, s1
	s_addc_u32 s29, s29, s34
	s_addc_u32 s30, s33, 0
	s_mul_i32 s1, s28, s1
	s_add_u32 s1, s29, s1
	s_addc_u32 s29, 0, s30
	s_add_u32 s30, s0, s1
	s_cselect_b64 s[0:1], -1, 0
	s_cmp_lg_u64 s[0:1], 0
	s_addc_u32 s28, s28, s29
	s_mul_i32 s0, s7, s28
	s_mul_hi_u32 s1, s7, s30
	s_add_i32 s0, s1, s0
	s_mul_i32 s21, s21, s30
	s_add_i32 s0, s0, s21
	s_mul_i32 s7, s7, s30
	s_mul_hi_u32 s21, s28, s7
	s_mul_i32 s29, s28, s7
	s_mul_i32 s33, s30, s0
	s_mul_hi_u32 s7, s30, s7
	s_mul_hi_u32 s31, s30, s0
	s_add_u32 s7, s7, s33
	s_addc_u32 s31, 0, s31
	s_add_u32 s7, s7, s29
	s_mul_hi_u32 s1, s28, s0
	s_addc_u32 s7, s31, s21
	s_addc_u32 s1, s1, 0
	s_mul_i32 s0, s28, s0
	s_add_u32 s0, s7, s0
	s_addc_u32 s7, 0, s1
	s_add_u32 s21, s30, s0
	s_cselect_b64 s[0:1], -1, 0
	v_ashrrev_i32_e32 v3, 31, v13
	s_cmp_lg_u64 s[0:1], 0
	v_add_co_u32_e32 v10, vcc, v12, v3
	s_addc_u32 s7, s28, s7
	v_xor_b32_e32 v14, v10, v3
	v_addc_co_u32_e32 v12, vcc, v13, v3, vcc
	v_mad_u64_u32 v[10:11], s[0:1], v14, s7, 0
	v_mul_hi_u32 v13, v14, s21
	v_xor_b32_e32 v15, v12, v3
	v_xor_b32_e32 v3, s20, v3
	v_add_co_u32_e32 v16, vcc, v13, v10
	v_addc_co_u32_e32 v17, vcc, 0, v11, vcc
	v_mad_u64_u32 v[10:11], s[0:1], v15, s21, 0
	v_mad_u64_u32 v[12:13], s[0:1], v15, s7, 0
	v_add_co_u32_e32 v10, vcc, v16, v10
	v_addc_co_u32_e32 v10, vcc, v17, v11, vcc
	v_addc_co_u32_e32 v11, vcc, 0, v13, vcc
	v_add_co_u32_e32 v12, vcc, v10, v12
	v_addc_co_u32_e32 v13, vcc, 0, v11, vcc
	v_mul_lo_u32 v16, s23, v12
	v_mul_lo_u32 v17, s22, v13
	v_mad_u64_u32 v[10:11], s[0:1], s22, v12, 0
	v_add3_u32 v11, v11, v17, v16
	v_sub_u32_e32 v16, v15, v11
	v_mov_b32_e32 v17, s23
	v_sub_co_u32_e32 v10, vcc, v14, v10
	v_subb_co_u32_e64 v14, s[0:1], v16, v17, vcc
	v_subrev_co_u32_e64 v16, s[0:1], s22, v10
	v_subbrev_co_u32_e64 v14, s[0:1], 0, v14, s[0:1]
	v_cmp_le_u32_e64 s[0:1], s23, v14
	v_cndmask_b32_e64 v17, 0, -1, s[0:1]
	v_cmp_le_u32_e64 s[0:1], s22, v16
	v_cndmask_b32_e64 v16, 0, -1, s[0:1]
	v_cmp_eq_u32_e64 s[0:1], s23, v14
	v_cndmask_b32_e64 v14, v17, v16, s[0:1]
	v_add_co_u32_e64 v16, s[0:1], 2, v12
	v_subb_co_u32_e32 v11, vcc, v15, v11, vcc
	v_addc_co_u32_e64 v17, s[0:1], 0, v13, s[0:1]
	v_cmp_le_u32_e32 vcc, s23, v11
	v_add_co_u32_e64 v18, s[0:1], 1, v12
	v_cndmask_b32_e64 v15, 0, -1, vcc
	v_cmp_le_u32_e32 vcc, s22, v10
	v_addc_co_u32_e64 v19, s[0:1], 0, v13, s[0:1]
	v_cndmask_b32_e64 v10, 0, -1, vcc
	v_cmp_eq_u32_e32 vcc, s23, v11
	v_cmp_ne_u32_e64 s[0:1], 0, v14
	v_cndmask_b32_e32 v10, v15, v10, vcc
	v_cndmask_b32_e64 v14, v19, v17, s[0:1]
	v_cmp_ne_u32_e32 vcc, 0, v10
	v_cndmask_b32_e64 v11, v18, v16, s[0:1]
	v_cndmask_b32_e32 v10, v13, v14, vcc
	v_cndmask_b32_e32 v11, v12, v11, vcc
	v_xor_b32_e32 v12, v10, v3
	v_xor_b32_e32 v10, v11, v3
	v_sub_co_u32_e32 v10, vcc, v10, v3
	v_subb_co_u32_e32 v11, vcc, v12, v3, vcc
                                        ; implicit-def: $vgpr12_vgpr13
.LBB26_9:                               ;   in Loop: Header=BB26_3 Depth=1
	s_andn2_saveexec_b64 s[0:1], s[10:11]
	s_cbranch_execz .LBB26_11
; %bb.10:                               ;   in Loop: Header=BB26_3 Depth=1
	v_cvt_f32_u32_e32 v3, s16
	s_sub_i32 s7, 0, s16
	v_rcp_iflag_f32_e32 v3, v3
	v_mul_f32_e32 v3, 0x4f7ffffe, v3
	v_cvt_u32_f32_e32 v3, v3
	v_mul_lo_u32 v10, s7, v3
	v_mul_hi_u32 v10, v3, v10
	v_add_u32_e32 v3, v3, v10
	v_mul_hi_u32 v3, v12, v3
	v_mul_lo_u32 v10, v3, s16
	v_add_u32_e32 v11, 1, v3
	v_sub_u32_e32 v10, v12, v10
	v_subrev_u32_e32 v12, s16, v10
	v_cmp_le_u32_e32 vcc, s16, v10
	v_cndmask_b32_e32 v10, v10, v12, vcc
	v_cndmask_b32_e32 v3, v3, v11, vcc
	v_add_u32_e32 v11, 1, v3
	v_cmp_le_u32_e32 vcc, s16, v10
	v_cndmask_b32_e32 v10, v3, v11, vcc
	v_mov_b32_e32 v11, v2
.LBB26_11:                              ;   in Loop: Header=BB26_3 Depth=1
	s_or_b64 exec, exec, s[0:1]
	v_or_b32_e32 v3, s15, v11
	v_cmp_ne_u64_e32 vcc, 0, v[2:3]
                                        ; implicit-def: $vgpr12_vgpr13
	s_and_saveexec_b64 s[0:1], vcc
	s_xor_b64 s[10:11], exec, s[0:1]
	s_cbranch_execz .LBB26_13
; %bb.12:                               ;   in Loop: Header=BB26_3 Depth=1
	s_ashr_i32 s20, s15, 31
	s_add_u32 s0, s14, s20
	s_mov_b32 s21, s20
	s_addc_u32 s1, s15, s20
	s_xor_b64 s[22:23], s[0:1], s[20:21]
	v_cvt_f32_u32_e32 v3, s22
	v_cvt_f32_u32_e32 v12, s23
	s_sub_u32 s7, 0, s22
	s_subb_u32 s21, 0, s23
	v_mac_f32_e32 v3, 0x4f800000, v12
	v_rcp_f32_e32 v3, v3
	v_mul_f32_e32 v3, 0x5f7ffffc, v3
	v_mul_f32_e32 v12, 0x2f800000, v3
	v_trunc_f32_e32 v12, v12
	v_mac_f32_e32 v3, 0xcf800000, v12
	v_cvt_u32_f32_e32 v12, v12
	v_cvt_u32_f32_e32 v3, v3
	v_readfirstlane_b32 s28, v12
	v_readfirstlane_b32 s0, v3
	s_mul_i32 s1, s7, s28
	s_mul_hi_u32 s30, s7, s0
	s_mul_i32 s29, s21, s0
	s_add_i32 s1, s30, s1
	s_add_i32 s1, s1, s29
	s_mul_i32 s31, s7, s0
	s_mul_i32 s30, s0, s1
	s_mul_hi_u32 s33, s0, s31
	s_mul_hi_u32 s29, s0, s1
	s_add_u32 s30, s33, s30
	s_addc_u32 s29, 0, s29
	s_mul_hi_u32 s34, s28, s31
	s_mul_i32 s31, s28, s31
	s_add_u32 s30, s30, s31
	s_mul_hi_u32 s33, s28, s1
	s_addc_u32 s29, s29, s34
	s_addc_u32 s30, s33, 0
	s_mul_i32 s1, s28, s1
	s_add_u32 s1, s29, s1
	s_addc_u32 s29, 0, s30
	s_add_u32 s30, s0, s1
	s_cselect_b64 s[0:1], -1, 0
	s_cmp_lg_u64 s[0:1], 0
	s_addc_u32 s28, s28, s29
	s_mul_i32 s0, s7, s28
	s_mul_hi_u32 s1, s7, s30
	s_add_i32 s0, s1, s0
	s_mul_i32 s21, s21, s30
	s_add_i32 s0, s0, s21
	s_mul_i32 s7, s7, s30
	s_mul_hi_u32 s21, s28, s7
	s_mul_i32 s29, s28, s7
	s_mul_i32 s33, s30, s0
	s_mul_hi_u32 s7, s30, s7
	s_mul_hi_u32 s31, s30, s0
	s_add_u32 s7, s7, s33
	s_addc_u32 s31, 0, s31
	s_add_u32 s7, s7, s29
	s_mul_hi_u32 s1, s28, s0
	s_addc_u32 s7, s31, s21
	s_addc_u32 s1, s1, 0
	s_mul_i32 s0, s28, s0
	s_add_u32 s0, s7, s0
	s_addc_u32 s7, 0, s1
	s_add_u32 s21, s30, s0
	s_cselect_b64 s[0:1], -1, 0
	v_ashrrev_i32_e32 v3, 31, v11
	s_cmp_lg_u64 s[0:1], 0
	v_add_co_u32_e32 v12, vcc, v10, v3
	s_addc_u32 s7, s28, s7
	v_xor_b32_e32 v15, v12, v3
	v_addc_co_u32_e32 v13, vcc, v11, v3, vcc
	v_mad_u64_u32 v[11:12], s[0:1], v15, s7, 0
	v_mul_hi_u32 v14, v15, s21
	v_xor_b32_e32 v16, v13, v3
	v_xor_b32_e32 v3, s20, v3
	v_add_co_u32_e32 v17, vcc, v14, v11
	v_addc_co_u32_e32 v18, vcc, 0, v12, vcc
	v_mad_u64_u32 v[11:12], s[0:1], v16, s21, 0
	v_mad_u64_u32 v[13:14], s[0:1], v16, s7, 0
	v_add_co_u32_e32 v11, vcc, v17, v11
	v_addc_co_u32_e32 v11, vcc, v18, v12, vcc
	v_addc_co_u32_e32 v12, vcc, 0, v14, vcc
	v_add_co_u32_e32 v13, vcc, v11, v13
	v_addc_co_u32_e32 v11, vcc, 0, v12, vcc
	v_mul_lo_u32 v14, s23, v13
	v_mul_lo_u32 v17, s22, v11
	v_mad_u64_u32 v[11:12], s[0:1], s22, v13, 0
	v_add3_u32 v12, v12, v17, v14
	v_sub_u32_e32 v14, v16, v12
	v_mov_b32_e32 v17, s23
	v_sub_co_u32_e32 v11, vcc, v15, v11
	v_subb_co_u32_e64 v14, s[0:1], v14, v17, vcc
	v_subrev_co_u32_e64 v15, s[0:1], s22, v11
	v_subbrev_co_u32_e64 v14, s[0:1], 0, v14, s[0:1]
	v_cmp_le_u32_e64 s[0:1], s23, v14
	v_subb_co_u32_e32 v12, vcc, v16, v12, vcc
	v_cndmask_b32_e64 v17, 0, -1, s[0:1]
	v_cmp_le_u32_e64 s[0:1], s22, v15
	v_cmp_le_u32_e32 vcc, s23, v12
	v_cndmask_b32_e64 v15, 0, -1, s[0:1]
	v_cmp_eq_u32_e64 s[0:1], s23, v14
	v_cndmask_b32_e64 v16, 0, -1, vcc
	v_cmp_le_u32_e32 vcc, s22, v11
	v_cndmask_b32_e64 v14, v17, v15, s[0:1]
	v_cndmask_b32_e64 v11, 0, -1, vcc
	v_cmp_eq_u32_e32 vcc, s23, v12
	v_add_co_u32_e64 v15, s[0:1], 2, v13
	v_add_co_u32_e64 v17, s[0:1], 1, v13
	v_cndmask_b32_e32 v11, v16, v11, vcc
	v_cmp_ne_u32_e32 vcc, 0, v14
	v_cndmask_b32_e32 v12, v17, v15, vcc
	v_cmp_ne_u32_e32 vcc, 0, v11
	v_cndmask_b32_e32 v11, v13, v12, vcc
	v_xor_b32_e32 v11, v11, v3
	v_sub_co_u32_e32 v12, vcc, v11, v3
.LBB26_13:                              ;   in Loop: Header=BB26_3 Depth=1
	s_andn2_saveexec_b64 s[0:1], s[10:11]
	s_cbranch_execz .LBB26_2
; %bb.14:                               ;   in Loop: Header=BB26_3 Depth=1
	v_cvt_f32_u32_e32 v3, s14
	s_sub_i32 s7, 0, s14
	v_rcp_iflag_f32_e32 v3, v3
	v_mul_f32_e32 v3, 0x4f7ffffe, v3
	v_cvt_u32_f32_e32 v3, v3
	v_mul_lo_u32 v11, s7, v3
	v_mul_hi_u32 v11, v3, v11
	v_add_u32_e32 v3, v3, v11
	v_mul_hi_u32 v3, v10, v3
	v_mul_lo_u32 v11, v3, s14
	v_add_u32_e32 v12, 1, v3
	v_sub_u32_e32 v11, v10, v11
	v_subrev_u32_e32 v13, s14, v11
	v_cmp_le_u32_e32 vcc, s14, v11
	v_cndmask_b32_e32 v11, v11, v13, vcc
	v_cndmask_b32_e32 v3, v3, v12, vcc
	v_add_u32_e32 v12, 1, v3
	v_cmp_le_u32_e32 vcc, s14, v11
	v_cndmask_b32_e32 v12, v3, v12, vcc
	s_branch .LBB26_2
.LBB26_15:
	s_endpgm
	.section	.rodata,"a",@progbits
	.p2align	6, 0x0
	.amdhsa_kernel _ZN2at6native31max_unpooling2d_backward_kernelIN3c108BFloat16EEEvlPKT_PKllllllPS4_
		.amdhsa_group_segment_fixed_size 0
		.amdhsa_private_segment_fixed_size 0
		.amdhsa_kernarg_size 328
		.amdhsa_user_sgpr_count 6
		.amdhsa_user_sgpr_private_segment_buffer 1
		.amdhsa_user_sgpr_dispatch_ptr 0
		.amdhsa_user_sgpr_queue_ptr 0
		.amdhsa_user_sgpr_kernarg_segment_ptr 1
		.amdhsa_user_sgpr_dispatch_id 0
		.amdhsa_user_sgpr_flat_scratch_init 0
		.amdhsa_user_sgpr_private_segment_size 0
		.amdhsa_uses_dynamic_stack 0
		.amdhsa_system_sgpr_private_segment_wavefront_offset 0
		.amdhsa_system_sgpr_workgroup_id_x 1
		.amdhsa_system_sgpr_workgroup_id_y 0
		.amdhsa_system_sgpr_workgroup_id_z 0
		.amdhsa_system_sgpr_workgroup_info 0
		.amdhsa_system_vgpr_workitem_id 0
		.amdhsa_next_free_vgpr 20
		.amdhsa_next_free_sgpr 35
		.amdhsa_reserve_vcc 1
		.amdhsa_reserve_flat_scratch 0
		.amdhsa_float_round_mode_32 0
		.amdhsa_float_round_mode_16_64 0
		.amdhsa_float_denorm_mode_32 3
		.amdhsa_float_denorm_mode_16_64 3
		.amdhsa_dx10_clamp 1
		.amdhsa_ieee_mode 1
		.amdhsa_fp16_overflow 0
		.amdhsa_exception_fp_ieee_invalid_op 0
		.amdhsa_exception_fp_denorm_src 0
		.amdhsa_exception_fp_ieee_div_zero 0
		.amdhsa_exception_fp_ieee_overflow 0
		.amdhsa_exception_fp_ieee_underflow 0
		.amdhsa_exception_fp_ieee_inexact 0
		.amdhsa_exception_int_div_zero 0
	.end_amdhsa_kernel
	.section	.text._ZN2at6native31max_unpooling2d_backward_kernelIN3c108BFloat16EEEvlPKT_PKllllllPS4_,"axG",@progbits,_ZN2at6native31max_unpooling2d_backward_kernelIN3c108BFloat16EEEvlPKT_PKllllllPS4_,comdat
.Lfunc_end26:
	.size	_ZN2at6native31max_unpooling2d_backward_kernelIN3c108BFloat16EEEvlPKT_PKllllllPS4_, .Lfunc_end26-_ZN2at6native31max_unpooling2d_backward_kernelIN3c108BFloat16EEEvlPKT_PKllllllPS4_
                                        ; -- End function
	.set _ZN2at6native31max_unpooling2d_backward_kernelIN3c108BFloat16EEEvlPKT_PKllllllPS4_.num_vgpr, 20
	.set _ZN2at6native31max_unpooling2d_backward_kernelIN3c108BFloat16EEEvlPKT_PKllllllPS4_.num_agpr, 0
	.set _ZN2at6native31max_unpooling2d_backward_kernelIN3c108BFloat16EEEvlPKT_PKllllllPS4_.numbered_sgpr, 35
	.set _ZN2at6native31max_unpooling2d_backward_kernelIN3c108BFloat16EEEvlPKT_PKllllllPS4_.num_named_barrier, 0
	.set _ZN2at6native31max_unpooling2d_backward_kernelIN3c108BFloat16EEEvlPKT_PKllllllPS4_.private_seg_size, 0
	.set _ZN2at6native31max_unpooling2d_backward_kernelIN3c108BFloat16EEEvlPKT_PKllllllPS4_.uses_vcc, 1
	.set _ZN2at6native31max_unpooling2d_backward_kernelIN3c108BFloat16EEEvlPKT_PKllllllPS4_.uses_flat_scratch, 0
	.set _ZN2at6native31max_unpooling2d_backward_kernelIN3c108BFloat16EEEvlPKT_PKllllllPS4_.has_dyn_sized_stack, 0
	.set _ZN2at6native31max_unpooling2d_backward_kernelIN3c108BFloat16EEEvlPKT_PKllllllPS4_.has_recursion, 0
	.set _ZN2at6native31max_unpooling2d_backward_kernelIN3c108BFloat16EEEvlPKT_PKllllllPS4_.has_indirect_call, 0
	.section	.AMDGPU.csdata,"",@progbits
; Kernel info:
; codeLenInByte = 2560
; TotalNumSgprs: 39
; NumVgprs: 20
; ScratchSize: 0
; MemoryBound: 0
; FloatMode: 240
; IeeeMode: 1
; LDSByteSize: 0 bytes/workgroup (compile time only)
; SGPRBlocks: 4
; VGPRBlocks: 4
; NumSGPRsForWavesPerEU: 39
; NumVGPRsForWavesPerEU: 20
; Occupancy: 10
; WaveLimiterHint : 1
; COMPUTE_PGM_RSRC2:SCRATCH_EN: 0
; COMPUTE_PGM_RSRC2:USER_SGPR: 6
; COMPUTE_PGM_RSRC2:TRAP_HANDLER: 0
; COMPUTE_PGM_RSRC2:TGID_X_EN: 1
; COMPUTE_PGM_RSRC2:TGID_Y_EN: 0
; COMPUTE_PGM_RSRC2:TGID_Z_EN: 0
; COMPUTE_PGM_RSRC2:TIDIG_COMP_CNT: 0
	.section	.text._ZN2at6native31max_unpooling3d_backward_kernelIhEEvPKT_lllN5torch10headeronly6detail27GenericPackedTensorAccessorINS7_14TensorAccessorIN3c108ArrayRefIlEElLm3ENS6_16DefaultPtrTraitsElEENS_6detail16IndexBoundsCheckILm4ElEElLm4ESD_lEENS8_INS9_ISC_S2_Lm3ESD_lEESH_S2_Lm4ESD_lEEi,"axG",@progbits,_ZN2at6native31max_unpooling3d_backward_kernelIhEEvPKT_lllN5torch10headeronly6detail27GenericPackedTensorAccessorINS7_14TensorAccessorIN3c108ArrayRefIlEElLm3ENS6_16DefaultPtrTraitsElEENS_6detail16IndexBoundsCheckILm4ElEElLm4ESD_lEENS8_INS9_ISC_S2_Lm3ESD_lEESH_S2_Lm4ESD_lEEi,comdat
	.protected	_ZN2at6native31max_unpooling3d_backward_kernelIhEEvPKT_lllN5torch10headeronly6detail27GenericPackedTensorAccessorINS7_14TensorAccessorIN3c108ArrayRefIlEElLm3ENS6_16DefaultPtrTraitsElEENS_6detail16IndexBoundsCheckILm4ElEElLm4ESD_lEENS8_INS9_ISC_S2_Lm3ESD_lEESH_S2_Lm4ESD_lEEi ; -- Begin function _ZN2at6native31max_unpooling3d_backward_kernelIhEEvPKT_lllN5torch10headeronly6detail27GenericPackedTensorAccessorINS7_14TensorAccessorIN3c108ArrayRefIlEElLm3ENS6_16DefaultPtrTraitsElEENS_6detail16IndexBoundsCheckILm4ElEElLm4ESD_lEENS8_INS9_ISC_S2_Lm3ESD_lEESH_S2_Lm4ESD_lEEi
	.globl	_ZN2at6native31max_unpooling3d_backward_kernelIhEEvPKT_lllN5torch10headeronly6detail27GenericPackedTensorAccessorINS7_14TensorAccessorIN3c108ArrayRefIlEElLm3ENS6_16DefaultPtrTraitsElEENS_6detail16IndexBoundsCheckILm4ElEElLm4ESD_lEENS8_INS9_ISC_S2_Lm3ESD_lEESH_S2_Lm4ESD_lEEi
	.p2align	8
	.type	_ZN2at6native31max_unpooling3d_backward_kernelIhEEvPKT_lllN5torch10headeronly6detail27GenericPackedTensorAccessorINS7_14TensorAccessorIN3c108ArrayRefIlEElLm3ENS6_16DefaultPtrTraitsElEENS_6detail16IndexBoundsCheckILm4ElEElLm4ESD_lEENS8_INS9_ISC_S2_Lm3ESD_lEESH_S2_Lm4ESD_lEEi,@function
_ZN2at6native31max_unpooling3d_backward_kernelIhEEvPKT_lllN5torch10headeronly6detail27GenericPackedTensorAccessorINS7_14TensorAccessorIN3c108ArrayRefIlEElLm3ENS6_16DefaultPtrTraitsElEENS_6detail16IndexBoundsCheckILm4ElEElLm4ESD_lEENS8_INS9_ISC_S2_Lm3ESD_lEESH_S2_Lm4ESD_lEEi: ; @_ZN2at6native31max_unpooling3d_backward_kernelIhEEvPKT_lllN5torch10headeronly6detail27GenericPackedTensorAccessorINS7_14TensorAccessorIN3c108ArrayRefIlEElLm3ENS6_16DefaultPtrTraitsElEENS_6detail16IndexBoundsCheckILm4ElEElLm4ESD_lEENS8_INS9_ISC_S2_Lm3ESD_lEESH_S2_Lm4ESD_lEEi
; %bb.0:
	s_load_dword s9, s[4:5], 0xb0
	s_load_dwordx2 s[0:1], s[4:5], 0x78
	s_load_dword s14, s[4:5], 0xc4
	s_add_u32 s2, s4, 0xb8
	s_addc_u32 s3, s5, 0
	s_waitcnt lgkmcnt(0)
	s_add_i32 s18, s9, s8
	s_mov_b32 s8, 0
	s_mov_b32 s9, s1
	s_cmp_lg_u64 s[8:9], 0
	s_cbranch_scc0 .LBB27_7
; %bb.1:
	s_ashr_i32 s10, s1, 31
	s_add_u32 s8, s0, s10
	s_mov_b32 s11, s10
	s_addc_u32 s9, s1, s10
	s_xor_b64 s[12:13], s[8:9], s[10:11]
	v_cvt_f32_u32_e32 v2, s12
	v_cvt_f32_u32_e32 v3, s13
	s_sub_u32 s1, 0, s12
	s_subb_u32 s15, 0, s13
	v_madmk_f32 v2, v3, 0x4f800000, v2
	v_rcp_f32_e32 v2, v2
	v_mul_f32_e32 v2, 0x5f7ffffc, v2
	v_mul_f32_e32 v3, 0x2f800000, v2
	v_trunc_f32_e32 v3, v3
	v_madmk_f32 v2, v3, 0xcf800000, v2
	v_cvt_u32_f32_e32 v3, v3
	v_cvt_u32_f32_e32 v2, v2
	v_readfirstlane_b32 s19, v3
	v_readfirstlane_b32 s16, v2
	s_mul_i32 s17, s1, s19
	s_mul_hi_u32 s21, s1, s16
	s_mul_i32 s20, s15, s16
	s_add_i32 s17, s21, s17
	s_add_i32 s17, s17, s20
	s_mul_i32 s22, s1, s16
	s_mul_i32 s21, s16, s17
	s_mul_hi_u32 s23, s16, s22
	s_mul_hi_u32 s20, s16, s17
	s_add_u32 s21, s23, s21
	s_addc_u32 s20, 0, s20
	s_mul_hi_u32 s24, s19, s22
	s_mul_i32 s22, s19, s22
	s_add_u32 s21, s21, s22
	s_mul_hi_u32 s23, s19, s17
	s_addc_u32 s20, s20, s24
	s_addc_u32 s21, s23, 0
	s_mul_i32 s17, s19, s17
	s_add_u32 s17, s20, s17
	s_addc_u32 s20, 0, s21
	s_add_u32 s21, s16, s17
	s_cselect_b64 s[16:17], -1, 0
	s_cmp_lg_u64 s[16:17], 0
	s_addc_u32 s19, s19, s20
	s_mul_i32 s16, s1, s19
	s_mul_hi_u32 s17, s1, s21
	s_add_i32 s16, s17, s16
	s_mul_i32 s15, s15, s21
	s_add_i32 s16, s16, s15
	s_mul_i32 s1, s1, s21
	s_mul_hi_u32 s17, s19, s1
	s_mul_i32 s20, s19, s1
	s_mul_i32 s23, s21, s16
	s_mul_hi_u32 s1, s21, s1
	s_mul_hi_u32 s22, s21, s16
	s_add_u32 s1, s1, s23
	s_addc_u32 s22, 0, s22
	s_add_u32 s1, s1, s20
	s_mul_hi_u32 s15, s19, s16
	s_addc_u32 s1, s22, s17
	s_addc_u32 s15, s15, 0
	s_mul_i32 s16, s19, s16
	s_add_u32 s1, s1, s16
	s_addc_u32 s15, 0, s15
	s_add_u32 s1, s21, s1
	s_cselect_b64 s[16:17], -1, 0
	s_cmp_lg_u64 s[16:17], 0
	s_addc_u32 s15, s19, s15
	s_add_u32 s16, s18, 0
	s_addc_u32 s17, 0, 0
	s_xor_b64 s[16:17], s[16:17], 0
	s_mul_i32 s20, s16, s15
	s_mul_hi_u32 s21, s16, s1
	s_mul_hi_u32 s19, s16, s15
	s_add_u32 s20, s21, s20
	s_addc_u32 s19, 0, s19
	s_mul_hi_u32 s22, s17, s1
	s_mul_i32 s1, s17, s1
	s_add_u32 s1, s20, s1
	s_mul_hi_u32 s21, s17, s15
	s_addc_u32 s1, s19, s22
	s_addc_u32 s19, s21, 0
	s_mul_i32 s15, s17, s15
	s_add_u32 s1, s1, s15
	s_addc_u32 s15, 0, s19
	s_mul_i32 s19, s12, s15
	s_mul_hi_u32 s20, s12, s1
	s_add_i32 s19, s20, s19
	s_mul_i32 s20, s13, s1
	s_add_i32 s19, s19, s20
	s_sub_i32 s22, s17, s19
	s_mul_i32 s20, s12, s1
	s_sub_u32 s16, s16, s20
	s_cselect_b64 s[20:21], -1, 0
	s_cmp_lg_u64 s[20:21], 0
	s_subb_u32 s24, s22, s13
	s_sub_u32 s25, s16, s12
	s_cselect_b64 s[22:23], -1, 0
	s_cmp_lg_u64 s[22:23], 0
	s_subb_u32 s22, s24, 0
	s_cmp_ge_u32 s22, s13
	s_cselect_b32 s23, -1, 0
	s_cmp_ge_u32 s25, s12
	s_cselect_b32 s24, -1, 0
	s_cmp_eq_u32 s22, s13
	s_cselect_b32 s22, s24, s23
	s_add_u32 s23, s1, 1
	s_addc_u32 s24, s15, 0
	s_add_u32 s25, s1, 2
	s_addc_u32 s26, s15, 0
	s_cmp_lg_u32 s22, 0
	s_cselect_b32 s22, s25, s23
	s_cselect_b32 s23, s26, s24
	s_cmp_lg_u64 s[20:21], 0
	s_subb_u32 s17, s17, s19
	s_cmp_ge_u32 s17, s13
	s_cselect_b32 s19, -1, 0
	s_cmp_ge_u32 s16, s12
	s_cselect_b32 s12, -1, 0
	s_cmp_eq_u32 s17, s13
	s_cselect_b32 s12, s12, s19
	s_cmp_lg_u32 s12, 0
	s_cselect_b32 s13, s23, s15
	s_cselect_b32 s12, s22, s1
	s_xor_b64 s[10:11], 0, s[10:11]
	s_xor_b64 s[12:13], s[12:13], s[10:11]
	s_sub_u32 s16, s12, s10
	s_subb_u32 s17, s13, s11
	s_lshr_b32 s1, s14, 16
	s_cbranch_execnz .LBB27_3
.LBB27_2:
	v_cvt_f32_u32_e32 v2, s0
	s_sub_i32 s8, 0, s0
	s_mov_b32 s17, 0
	v_rcp_iflag_f32_e32 v2, v2
	v_mul_f32_e32 v2, 0x4f7ffffe, v2
	v_cvt_u32_f32_e32 v2, v2
	v_readfirstlane_b32 s9, v2
	s_mul_i32 s8, s8, s9
	s_mul_hi_u32 s8, s9, s8
	s_add_i32 s9, s9, s8
	s_mul_hi_u32 s8, s18, s9
	s_mul_i32 s10, s8, s0
	s_sub_i32 s10, s18, s10
	s_add_i32 s9, s8, 1
	s_sub_i32 s11, s10, s0
	s_cmp_ge_u32 s10, s0
	s_cselect_b32 s8, s9, s8
	s_cselect_b32 s10, s11, s10
	s_add_i32 s9, s8, 1
	s_cmp_ge_u32 s10, s0
	s_cselect_b32 s16, s9, s8
.LBB27_3:
	s_load_dwordx2 s[8:9], s[4:5], 0x80
	s_and_b32 s1, 0xffff, s1
	s_mul_i32 s7, s7, s1
	v_add_u32_e32 v1, s7, v1
	v_ashrrev_i32_e32 v2, 31, v1
	s_waitcnt lgkmcnt(0)
	v_cmp_gt_i64_e32 vcc, s[8:9], v[1:2]
	s_and_saveexec_b64 s[8:9], vcc
	s_cbranch_execz .LBB27_6
; %bb.4:
	s_load_dword s1, s[2:3], 0xc
	s_load_dwordx2 s[8:9], s[4:5], 0x88
	s_waitcnt lgkmcnt(0)
	s_and_b32 s1, s1, 0xffff
	s_mul_i32 s6, s6, s1
	v_add_u32_e32 v3, s6, v0
	v_ashrrev_i32_e32 v4, 31, v3
	v_cmp_gt_i64_e32 vcc, s[8:9], v[3:4]
	s_and_b64 exec, exec, vcc
	s_cbranch_execz .LBB27_6
; %bb.5:
	s_load_dwordx8 s[8:15], s[4:5], 0x48
	s_mul_i32 s6, s16, s0
	s_load_dwordx2 s[0:1], s[4:5], 0x20
	s_bfe_i64 s[2:3], s[16:17], 0x200000
	s_sub_i32 s2, s18, s6
	s_waitcnt lgkmcnt(0)
	s_mul_i32 s6, s8, s3
	s_mul_hi_u32 s7, s8, s16
	s_add_i32 s6, s7, s6
	s_mul_i32 s7, s9, s16
	s_add_i32 s7, s6, s7
	s_mul_i32 s6, s8, s16
	s_lshl_b64 s[6:7], s[6:7], 3
	s_add_u32 s8, s0, s6
	s_addc_u32 s9, s1, s7
	s_ashr_i32 s17, s2, 31
	s_mul_i32 s0, s10, s17
	s_mul_hi_u32 s1, s10, s2
	s_add_i32 s0, s1, s0
	s_mul_i32 s1, s11, s2
	s_add_i32 s1, s0, s1
	s_mul_i32 s0, s10, s2
	v_mul_lo_u32 v0, s13, v1
	v_mul_lo_u32 v7, s12, v2
	v_mad_u64_u32 v[5:6], s[6:7], s12, v1, 0
	s_lshl_b64 s[0:1], s[0:1], 3
	s_add_u32 s6, s8, s0
	s_addc_u32 s0, s9, s1
	v_add3_u32 v6, v6, v7, v0
	v_mov_b32_e32 v0, s0
	v_mul_lo_u32 v9, s15, v3
	v_mul_lo_u32 v10, s14, v4
	v_mad_u64_u32 v[7:8], s[0:1], s14, v3, 0
	v_lshlrev_b64 v[5:6], 3, v[5:6]
	s_load_dwordx8 s[8:15], s[4:5], 0x0
	v_add_co_u32_e32 v11, vcc, s6, v5
	v_add3_u32 v8, v8, v10, v9
	v_addc_co_u32_e32 v0, vcc, v0, v6, vcc
	v_lshlrev_b64 v[5:6], 3, v[7:8]
	s_waitcnt lgkmcnt(0)
	s_mul_i32 s0, s12, s11
	v_add_co_u32_e32 v5, vcc, v11, v5
	v_addc_co_u32_e32 v6, vcc, v0, v6, vcc
	global_load_dwordx2 v[5:6], v[5:6], off
	s_mul_hi_u32 s1, s12, s10
	s_mul_i32 s6, s13, s10
	s_mul_i32 s7, s12, s10
	s_add_i32 s0, s1, s0
	s_mul_i32 s10, s7, s15
	s_mul_hi_u32 s11, s7, s14
	s_add_i32 s0, s0, s6
	s_mul_i32 s7, s7, s14
	s_add_i32 s1, s11, s10
	s_mul_i32 s0, s0, s14
	s_mul_i32 s12, s7, s3
	s_mul_hi_u32 s13, s7, s16
	s_add_i32 s0, s1, s0
	s_add_i32 s10, s13, s12
	s_mul_i32 s0, s0, s16
	s_mul_i32 s7, s7, s16
	s_add_i32 s10, s10, s0
	s_add_u32 s0, s8, s7
	s_addc_u32 s1, s9, s10
	v_mov_b32_e32 v0, s1
	s_waitcnt vmcnt(0)
	v_add_co_u32_e32 v5, vcc, s0, v5
	v_addc_co_u32_e32 v6, vcc, v0, v6, vcc
	global_load_ubyte v7, v[5:6], off
	s_load_dwordx8 s[8:15], s[4:5], 0x90
	s_load_dwordx2 s[0:1], s[4:5], 0x68
	s_waitcnt lgkmcnt(0)
	s_mul_i32 s3, s8, s3
	s_mul_hi_u32 s4, s8, s16
	s_add_i32 s3, s4, s3
	s_mul_i32 s4, s9, s16
	s_add_i32 s3, s3, s4
	s_mul_i32 s4, s8, s16
	s_add_u32 s0, s0, s4
	s_addc_u32 s1, s1, s3
	s_mul_i32 s3, s10, s17
	s_mul_hi_u32 s4, s10, s2
	s_add_i32 s3, s4, s3
	s_mul_i32 s4, s11, s2
	s_add_i32 s3, s3, s4
	s_mul_i32 s2, s10, s2
	s_add_u32 s0, s0, s2
	s_addc_u32 s1, s1, s3
	v_mov_b32_e32 v6, s1
	v_mov_b32_e32 v5, s0
	v_mad_u64_u32 v[5:6], s[0:1], s12, v1, v[5:6]
	v_mul_lo_u32 v0, s12, v2
	v_mul_lo_u32 v1, s13, v1
	;; [unrolled: 1-line block ×3, first 2 shown]
	v_add3_u32 v6, v1, v6, v0
	v_mad_u64_u32 v[0:1], s[0:1], s14, v3, v[5:6]
	v_mul_lo_u32 v3, s15, v3
	v_add3_u32 v1, v3, v1, v2
	s_waitcnt vmcnt(0)
	global_store_byte v[0:1], v7, off
.LBB27_6:
	s_endpgm
.LBB27_7:
                                        ; implicit-def: $sgpr16_sgpr17
	s_lshr_b32 s1, s14, 16
	s_branch .LBB27_2
	.section	.rodata,"a",@progbits
	.p2align	6, 0x0
	.amdhsa_kernel _ZN2at6native31max_unpooling3d_backward_kernelIhEEvPKT_lllN5torch10headeronly6detail27GenericPackedTensorAccessorINS7_14TensorAccessorIN3c108ArrayRefIlEElLm3ENS6_16DefaultPtrTraitsElEENS_6detail16IndexBoundsCheckILm4ElEElLm4ESD_lEENS8_INS9_ISC_S2_Lm3ESD_lEESH_S2_Lm4ESD_lEEi
		.amdhsa_group_segment_fixed_size 0
		.amdhsa_private_segment_fixed_size 0
		.amdhsa_kernarg_size 440
		.amdhsa_user_sgpr_count 6
		.amdhsa_user_sgpr_private_segment_buffer 1
		.amdhsa_user_sgpr_dispatch_ptr 0
		.amdhsa_user_sgpr_queue_ptr 0
		.amdhsa_user_sgpr_kernarg_segment_ptr 1
		.amdhsa_user_sgpr_dispatch_id 0
		.amdhsa_user_sgpr_flat_scratch_init 0
		.amdhsa_user_sgpr_private_segment_size 0
		.amdhsa_uses_dynamic_stack 0
		.amdhsa_system_sgpr_private_segment_wavefront_offset 0
		.amdhsa_system_sgpr_workgroup_id_x 1
		.amdhsa_system_sgpr_workgroup_id_y 1
		.amdhsa_system_sgpr_workgroup_id_z 1
		.amdhsa_system_sgpr_workgroup_info 0
		.amdhsa_system_vgpr_workitem_id 1
		.amdhsa_next_free_vgpr 12
		.amdhsa_next_free_sgpr 27
		.amdhsa_reserve_vcc 1
		.amdhsa_reserve_flat_scratch 0
		.amdhsa_float_round_mode_32 0
		.amdhsa_float_round_mode_16_64 0
		.amdhsa_float_denorm_mode_32 3
		.amdhsa_float_denorm_mode_16_64 3
		.amdhsa_dx10_clamp 1
		.amdhsa_ieee_mode 1
		.amdhsa_fp16_overflow 0
		.amdhsa_exception_fp_ieee_invalid_op 0
		.amdhsa_exception_fp_denorm_src 0
		.amdhsa_exception_fp_ieee_div_zero 0
		.amdhsa_exception_fp_ieee_overflow 0
		.amdhsa_exception_fp_ieee_underflow 0
		.amdhsa_exception_fp_ieee_inexact 0
		.amdhsa_exception_int_div_zero 0
	.end_amdhsa_kernel
	.section	.text._ZN2at6native31max_unpooling3d_backward_kernelIhEEvPKT_lllN5torch10headeronly6detail27GenericPackedTensorAccessorINS7_14TensorAccessorIN3c108ArrayRefIlEElLm3ENS6_16DefaultPtrTraitsElEENS_6detail16IndexBoundsCheckILm4ElEElLm4ESD_lEENS8_INS9_ISC_S2_Lm3ESD_lEESH_S2_Lm4ESD_lEEi,"axG",@progbits,_ZN2at6native31max_unpooling3d_backward_kernelIhEEvPKT_lllN5torch10headeronly6detail27GenericPackedTensorAccessorINS7_14TensorAccessorIN3c108ArrayRefIlEElLm3ENS6_16DefaultPtrTraitsElEENS_6detail16IndexBoundsCheckILm4ElEElLm4ESD_lEENS8_INS9_ISC_S2_Lm3ESD_lEESH_S2_Lm4ESD_lEEi,comdat
.Lfunc_end27:
	.size	_ZN2at6native31max_unpooling3d_backward_kernelIhEEvPKT_lllN5torch10headeronly6detail27GenericPackedTensorAccessorINS7_14TensorAccessorIN3c108ArrayRefIlEElLm3ENS6_16DefaultPtrTraitsElEENS_6detail16IndexBoundsCheckILm4ElEElLm4ESD_lEENS8_INS9_ISC_S2_Lm3ESD_lEESH_S2_Lm4ESD_lEEi, .Lfunc_end27-_ZN2at6native31max_unpooling3d_backward_kernelIhEEvPKT_lllN5torch10headeronly6detail27GenericPackedTensorAccessorINS7_14TensorAccessorIN3c108ArrayRefIlEElLm3ENS6_16DefaultPtrTraitsElEENS_6detail16IndexBoundsCheckILm4ElEElLm4ESD_lEENS8_INS9_ISC_S2_Lm3ESD_lEESH_S2_Lm4ESD_lEEi
                                        ; -- End function
	.set _ZN2at6native31max_unpooling3d_backward_kernelIhEEvPKT_lllN5torch10headeronly6detail27GenericPackedTensorAccessorINS7_14TensorAccessorIN3c108ArrayRefIlEElLm3ENS6_16DefaultPtrTraitsElEENS_6detail16IndexBoundsCheckILm4ElEElLm4ESD_lEENS8_INS9_ISC_S2_Lm3ESD_lEESH_S2_Lm4ESD_lEEi.num_vgpr, 12
	.set _ZN2at6native31max_unpooling3d_backward_kernelIhEEvPKT_lllN5torch10headeronly6detail27GenericPackedTensorAccessorINS7_14TensorAccessorIN3c108ArrayRefIlEElLm3ENS6_16DefaultPtrTraitsElEENS_6detail16IndexBoundsCheckILm4ElEElLm4ESD_lEENS8_INS9_ISC_S2_Lm3ESD_lEESH_S2_Lm4ESD_lEEi.num_agpr, 0
	.set _ZN2at6native31max_unpooling3d_backward_kernelIhEEvPKT_lllN5torch10headeronly6detail27GenericPackedTensorAccessorINS7_14TensorAccessorIN3c108ArrayRefIlEElLm3ENS6_16DefaultPtrTraitsElEENS_6detail16IndexBoundsCheckILm4ElEElLm4ESD_lEENS8_INS9_ISC_S2_Lm3ESD_lEESH_S2_Lm4ESD_lEEi.numbered_sgpr, 27
	.set _ZN2at6native31max_unpooling3d_backward_kernelIhEEvPKT_lllN5torch10headeronly6detail27GenericPackedTensorAccessorINS7_14TensorAccessorIN3c108ArrayRefIlEElLm3ENS6_16DefaultPtrTraitsElEENS_6detail16IndexBoundsCheckILm4ElEElLm4ESD_lEENS8_INS9_ISC_S2_Lm3ESD_lEESH_S2_Lm4ESD_lEEi.num_named_barrier, 0
	.set _ZN2at6native31max_unpooling3d_backward_kernelIhEEvPKT_lllN5torch10headeronly6detail27GenericPackedTensorAccessorINS7_14TensorAccessorIN3c108ArrayRefIlEElLm3ENS6_16DefaultPtrTraitsElEENS_6detail16IndexBoundsCheckILm4ElEElLm4ESD_lEENS8_INS9_ISC_S2_Lm3ESD_lEESH_S2_Lm4ESD_lEEi.private_seg_size, 0
	.set _ZN2at6native31max_unpooling3d_backward_kernelIhEEvPKT_lllN5torch10headeronly6detail27GenericPackedTensorAccessorINS7_14TensorAccessorIN3c108ArrayRefIlEElLm3ENS6_16DefaultPtrTraitsElEENS_6detail16IndexBoundsCheckILm4ElEElLm4ESD_lEENS8_INS9_ISC_S2_Lm3ESD_lEESH_S2_Lm4ESD_lEEi.uses_vcc, 1
	.set _ZN2at6native31max_unpooling3d_backward_kernelIhEEvPKT_lllN5torch10headeronly6detail27GenericPackedTensorAccessorINS7_14TensorAccessorIN3c108ArrayRefIlEElLm3ENS6_16DefaultPtrTraitsElEENS_6detail16IndexBoundsCheckILm4ElEElLm4ESD_lEENS8_INS9_ISC_S2_Lm3ESD_lEESH_S2_Lm4ESD_lEEi.uses_flat_scratch, 0
	.set _ZN2at6native31max_unpooling3d_backward_kernelIhEEvPKT_lllN5torch10headeronly6detail27GenericPackedTensorAccessorINS7_14TensorAccessorIN3c108ArrayRefIlEElLm3ENS6_16DefaultPtrTraitsElEENS_6detail16IndexBoundsCheckILm4ElEElLm4ESD_lEENS8_INS9_ISC_S2_Lm3ESD_lEESH_S2_Lm4ESD_lEEi.has_dyn_sized_stack, 0
	.set _ZN2at6native31max_unpooling3d_backward_kernelIhEEvPKT_lllN5torch10headeronly6detail27GenericPackedTensorAccessorINS7_14TensorAccessorIN3c108ArrayRefIlEElLm3ENS6_16DefaultPtrTraitsElEENS_6detail16IndexBoundsCheckILm4ElEElLm4ESD_lEENS8_INS9_ISC_S2_Lm3ESD_lEESH_S2_Lm4ESD_lEEi.has_recursion, 0
	.set _ZN2at6native31max_unpooling3d_backward_kernelIhEEvPKT_lllN5torch10headeronly6detail27GenericPackedTensorAccessorINS7_14TensorAccessorIN3c108ArrayRefIlEElLm3ENS6_16DefaultPtrTraitsElEENS_6detail16IndexBoundsCheckILm4ElEElLm4ESD_lEENS8_INS9_ISC_S2_Lm3ESD_lEESH_S2_Lm4ESD_lEEi.has_indirect_call, 0
	.section	.AMDGPU.csdata,"",@progbits
; Kernel info:
; codeLenInByte = 1300
; TotalNumSgprs: 31
; NumVgprs: 12
; ScratchSize: 0
; MemoryBound: 0
; FloatMode: 240
; IeeeMode: 1
; LDSByteSize: 0 bytes/workgroup (compile time only)
; SGPRBlocks: 3
; VGPRBlocks: 2
; NumSGPRsForWavesPerEU: 31
; NumVGPRsForWavesPerEU: 12
; Occupancy: 10
; WaveLimiterHint : 1
; COMPUTE_PGM_RSRC2:SCRATCH_EN: 0
; COMPUTE_PGM_RSRC2:USER_SGPR: 6
; COMPUTE_PGM_RSRC2:TRAP_HANDLER: 0
; COMPUTE_PGM_RSRC2:TGID_X_EN: 1
; COMPUTE_PGM_RSRC2:TGID_Y_EN: 1
; COMPUTE_PGM_RSRC2:TGID_Z_EN: 1
; COMPUTE_PGM_RSRC2:TIDIG_COMP_CNT: 1
	.section	.text._ZN2at6native31max_unpooling3d_backward_kernelIaEEvPKT_lllN5torch10headeronly6detail27GenericPackedTensorAccessorINS7_14TensorAccessorIN3c108ArrayRefIlEElLm3ENS6_16DefaultPtrTraitsElEENS_6detail16IndexBoundsCheckILm4ElEElLm4ESD_lEENS8_INS9_ISC_S2_Lm3ESD_lEESH_S2_Lm4ESD_lEEi,"axG",@progbits,_ZN2at6native31max_unpooling3d_backward_kernelIaEEvPKT_lllN5torch10headeronly6detail27GenericPackedTensorAccessorINS7_14TensorAccessorIN3c108ArrayRefIlEElLm3ENS6_16DefaultPtrTraitsElEENS_6detail16IndexBoundsCheckILm4ElEElLm4ESD_lEENS8_INS9_ISC_S2_Lm3ESD_lEESH_S2_Lm4ESD_lEEi,comdat
	.protected	_ZN2at6native31max_unpooling3d_backward_kernelIaEEvPKT_lllN5torch10headeronly6detail27GenericPackedTensorAccessorINS7_14TensorAccessorIN3c108ArrayRefIlEElLm3ENS6_16DefaultPtrTraitsElEENS_6detail16IndexBoundsCheckILm4ElEElLm4ESD_lEENS8_INS9_ISC_S2_Lm3ESD_lEESH_S2_Lm4ESD_lEEi ; -- Begin function _ZN2at6native31max_unpooling3d_backward_kernelIaEEvPKT_lllN5torch10headeronly6detail27GenericPackedTensorAccessorINS7_14TensorAccessorIN3c108ArrayRefIlEElLm3ENS6_16DefaultPtrTraitsElEENS_6detail16IndexBoundsCheckILm4ElEElLm4ESD_lEENS8_INS9_ISC_S2_Lm3ESD_lEESH_S2_Lm4ESD_lEEi
	.globl	_ZN2at6native31max_unpooling3d_backward_kernelIaEEvPKT_lllN5torch10headeronly6detail27GenericPackedTensorAccessorINS7_14TensorAccessorIN3c108ArrayRefIlEElLm3ENS6_16DefaultPtrTraitsElEENS_6detail16IndexBoundsCheckILm4ElEElLm4ESD_lEENS8_INS9_ISC_S2_Lm3ESD_lEESH_S2_Lm4ESD_lEEi
	.p2align	8
	.type	_ZN2at6native31max_unpooling3d_backward_kernelIaEEvPKT_lllN5torch10headeronly6detail27GenericPackedTensorAccessorINS7_14TensorAccessorIN3c108ArrayRefIlEElLm3ENS6_16DefaultPtrTraitsElEENS_6detail16IndexBoundsCheckILm4ElEElLm4ESD_lEENS8_INS9_ISC_S2_Lm3ESD_lEESH_S2_Lm4ESD_lEEi,@function
_ZN2at6native31max_unpooling3d_backward_kernelIaEEvPKT_lllN5torch10headeronly6detail27GenericPackedTensorAccessorINS7_14TensorAccessorIN3c108ArrayRefIlEElLm3ENS6_16DefaultPtrTraitsElEENS_6detail16IndexBoundsCheckILm4ElEElLm4ESD_lEENS8_INS9_ISC_S2_Lm3ESD_lEESH_S2_Lm4ESD_lEEi: ; @_ZN2at6native31max_unpooling3d_backward_kernelIaEEvPKT_lllN5torch10headeronly6detail27GenericPackedTensorAccessorINS7_14TensorAccessorIN3c108ArrayRefIlEElLm3ENS6_16DefaultPtrTraitsElEENS_6detail16IndexBoundsCheckILm4ElEElLm4ESD_lEENS8_INS9_ISC_S2_Lm3ESD_lEESH_S2_Lm4ESD_lEEi
; %bb.0:
	s_load_dword s9, s[4:5], 0xb0
	s_load_dwordx2 s[0:1], s[4:5], 0x78
	s_load_dword s14, s[4:5], 0xc4
	s_add_u32 s2, s4, 0xb8
	s_addc_u32 s3, s5, 0
	s_waitcnt lgkmcnt(0)
	s_add_i32 s18, s9, s8
	s_mov_b32 s8, 0
	s_mov_b32 s9, s1
	s_cmp_lg_u64 s[8:9], 0
	s_cbranch_scc0 .LBB28_7
; %bb.1:
	s_ashr_i32 s10, s1, 31
	s_add_u32 s8, s0, s10
	s_mov_b32 s11, s10
	s_addc_u32 s9, s1, s10
	s_xor_b64 s[12:13], s[8:9], s[10:11]
	v_cvt_f32_u32_e32 v2, s12
	v_cvt_f32_u32_e32 v3, s13
	s_sub_u32 s1, 0, s12
	s_subb_u32 s15, 0, s13
	v_madmk_f32 v2, v3, 0x4f800000, v2
	v_rcp_f32_e32 v2, v2
	v_mul_f32_e32 v2, 0x5f7ffffc, v2
	v_mul_f32_e32 v3, 0x2f800000, v2
	v_trunc_f32_e32 v3, v3
	v_madmk_f32 v2, v3, 0xcf800000, v2
	v_cvt_u32_f32_e32 v3, v3
	v_cvt_u32_f32_e32 v2, v2
	v_readfirstlane_b32 s19, v3
	v_readfirstlane_b32 s16, v2
	s_mul_i32 s17, s1, s19
	s_mul_hi_u32 s21, s1, s16
	s_mul_i32 s20, s15, s16
	s_add_i32 s17, s21, s17
	s_add_i32 s17, s17, s20
	s_mul_i32 s22, s1, s16
	s_mul_i32 s21, s16, s17
	s_mul_hi_u32 s23, s16, s22
	s_mul_hi_u32 s20, s16, s17
	s_add_u32 s21, s23, s21
	s_addc_u32 s20, 0, s20
	s_mul_hi_u32 s24, s19, s22
	s_mul_i32 s22, s19, s22
	s_add_u32 s21, s21, s22
	s_mul_hi_u32 s23, s19, s17
	s_addc_u32 s20, s20, s24
	s_addc_u32 s21, s23, 0
	s_mul_i32 s17, s19, s17
	s_add_u32 s17, s20, s17
	s_addc_u32 s20, 0, s21
	s_add_u32 s21, s16, s17
	s_cselect_b64 s[16:17], -1, 0
	s_cmp_lg_u64 s[16:17], 0
	s_addc_u32 s19, s19, s20
	s_mul_i32 s16, s1, s19
	s_mul_hi_u32 s17, s1, s21
	s_add_i32 s16, s17, s16
	s_mul_i32 s15, s15, s21
	s_add_i32 s16, s16, s15
	s_mul_i32 s1, s1, s21
	s_mul_hi_u32 s17, s19, s1
	s_mul_i32 s20, s19, s1
	s_mul_i32 s23, s21, s16
	s_mul_hi_u32 s1, s21, s1
	s_mul_hi_u32 s22, s21, s16
	s_add_u32 s1, s1, s23
	s_addc_u32 s22, 0, s22
	s_add_u32 s1, s1, s20
	s_mul_hi_u32 s15, s19, s16
	s_addc_u32 s1, s22, s17
	s_addc_u32 s15, s15, 0
	s_mul_i32 s16, s19, s16
	s_add_u32 s1, s1, s16
	s_addc_u32 s15, 0, s15
	s_add_u32 s1, s21, s1
	s_cselect_b64 s[16:17], -1, 0
	s_cmp_lg_u64 s[16:17], 0
	s_addc_u32 s15, s19, s15
	s_add_u32 s16, s18, 0
	s_addc_u32 s17, 0, 0
	s_xor_b64 s[16:17], s[16:17], 0
	s_mul_i32 s20, s16, s15
	s_mul_hi_u32 s21, s16, s1
	s_mul_hi_u32 s19, s16, s15
	s_add_u32 s20, s21, s20
	s_addc_u32 s19, 0, s19
	s_mul_hi_u32 s22, s17, s1
	s_mul_i32 s1, s17, s1
	s_add_u32 s1, s20, s1
	s_mul_hi_u32 s21, s17, s15
	s_addc_u32 s1, s19, s22
	s_addc_u32 s19, s21, 0
	s_mul_i32 s15, s17, s15
	s_add_u32 s1, s1, s15
	s_addc_u32 s15, 0, s19
	s_mul_i32 s19, s12, s15
	s_mul_hi_u32 s20, s12, s1
	s_add_i32 s19, s20, s19
	s_mul_i32 s20, s13, s1
	s_add_i32 s19, s19, s20
	s_sub_i32 s22, s17, s19
	s_mul_i32 s20, s12, s1
	s_sub_u32 s16, s16, s20
	s_cselect_b64 s[20:21], -1, 0
	s_cmp_lg_u64 s[20:21], 0
	s_subb_u32 s24, s22, s13
	s_sub_u32 s25, s16, s12
	s_cselect_b64 s[22:23], -1, 0
	s_cmp_lg_u64 s[22:23], 0
	s_subb_u32 s22, s24, 0
	s_cmp_ge_u32 s22, s13
	s_cselect_b32 s23, -1, 0
	s_cmp_ge_u32 s25, s12
	s_cselect_b32 s24, -1, 0
	s_cmp_eq_u32 s22, s13
	s_cselect_b32 s22, s24, s23
	s_add_u32 s23, s1, 1
	s_addc_u32 s24, s15, 0
	s_add_u32 s25, s1, 2
	s_addc_u32 s26, s15, 0
	s_cmp_lg_u32 s22, 0
	s_cselect_b32 s22, s25, s23
	s_cselect_b32 s23, s26, s24
	s_cmp_lg_u64 s[20:21], 0
	s_subb_u32 s17, s17, s19
	s_cmp_ge_u32 s17, s13
	s_cselect_b32 s19, -1, 0
	s_cmp_ge_u32 s16, s12
	s_cselect_b32 s12, -1, 0
	s_cmp_eq_u32 s17, s13
	s_cselect_b32 s12, s12, s19
	s_cmp_lg_u32 s12, 0
	s_cselect_b32 s13, s23, s15
	s_cselect_b32 s12, s22, s1
	s_xor_b64 s[10:11], 0, s[10:11]
	s_xor_b64 s[12:13], s[12:13], s[10:11]
	s_sub_u32 s16, s12, s10
	s_subb_u32 s17, s13, s11
	s_lshr_b32 s1, s14, 16
	s_cbranch_execnz .LBB28_3
.LBB28_2:
	v_cvt_f32_u32_e32 v2, s0
	s_sub_i32 s8, 0, s0
	s_mov_b32 s17, 0
	v_rcp_iflag_f32_e32 v2, v2
	v_mul_f32_e32 v2, 0x4f7ffffe, v2
	v_cvt_u32_f32_e32 v2, v2
	v_readfirstlane_b32 s9, v2
	s_mul_i32 s8, s8, s9
	s_mul_hi_u32 s8, s9, s8
	s_add_i32 s9, s9, s8
	s_mul_hi_u32 s8, s18, s9
	s_mul_i32 s10, s8, s0
	s_sub_i32 s10, s18, s10
	s_add_i32 s9, s8, 1
	s_sub_i32 s11, s10, s0
	s_cmp_ge_u32 s10, s0
	s_cselect_b32 s8, s9, s8
	s_cselect_b32 s10, s11, s10
	s_add_i32 s9, s8, 1
	s_cmp_ge_u32 s10, s0
	s_cselect_b32 s16, s9, s8
.LBB28_3:
	s_load_dwordx2 s[8:9], s[4:5], 0x80
	s_and_b32 s1, 0xffff, s1
	s_mul_i32 s7, s7, s1
	v_add_u32_e32 v1, s7, v1
	v_ashrrev_i32_e32 v2, 31, v1
	s_waitcnt lgkmcnt(0)
	v_cmp_gt_i64_e32 vcc, s[8:9], v[1:2]
	s_and_saveexec_b64 s[8:9], vcc
	s_cbranch_execz .LBB28_6
; %bb.4:
	s_load_dword s1, s[2:3], 0xc
	s_load_dwordx2 s[8:9], s[4:5], 0x88
	s_waitcnt lgkmcnt(0)
	s_and_b32 s1, s1, 0xffff
	s_mul_i32 s6, s6, s1
	v_add_u32_e32 v3, s6, v0
	v_ashrrev_i32_e32 v4, 31, v3
	v_cmp_gt_i64_e32 vcc, s[8:9], v[3:4]
	s_and_b64 exec, exec, vcc
	s_cbranch_execz .LBB28_6
; %bb.5:
	s_load_dwordx8 s[8:15], s[4:5], 0x48
	s_mul_i32 s6, s16, s0
	s_load_dwordx2 s[0:1], s[4:5], 0x20
	s_bfe_i64 s[2:3], s[16:17], 0x200000
	s_sub_i32 s2, s18, s6
	s_waitcnt lgkmcnt(0)
	s_mul_i32 s6, s8, s3
	s_mul_hi_u32 s7, s8, s16
	s_add_i32 s6, s7, s6
	s_mul_i32 s7, s9, s16
	s_add_i32 s7, s6, s7
	s_mul_i32 s6, s8, s16
	s_lshl_b64 s[6:7], s[6:7], 3
	s_add_u32 s8, s0, s6
	s_addc_u32 s9, s1, s7
	s_ashr_i32 s17, s2, 31
	s_mul_i32 s0, s10, s17
	s_mul_hi_u32 s1, s10, s2
	s_add_i32 s0, s1, s0
	s_mul_i32 s1, s11, s2
	s_add_i32 s1, s0, s1
	s_mul_i32 s0, s10, s2
	v_mul_lo_u32 v0, s13, v1
	v_mul_lo_u32 v7, s12, v2
	v_mad_u64_u32 v[5:6], s[6:7], s12, v1, 0
	s_lshl_b64 s[0:1], s[0:1], 3
	s_add_u32 s6, s8, s0
	s_addc_u32 s0, s9, s1
	v_add3_u32 v6, v6, v7, v0
	v_mov_b32_e32 v0, s0
	v_mul_lo_u32 v9, s15, v3
	v_mul_lo_u32 v10, s14, v4
	v_mad_u64_u32 v[7:8], s[0:1], s14, v3, 0
	v_lshlrev_b64 v[5:6], 3, v[5:6]
	s_load_dwordx8 s[8:15], s[4:5], 0x0
	v_add_co_u32_e32 v11, vcc, s6, v5
	v_add3_u32 v8, v8, v10, v9
	v_addc_co_u32_e32 v0, vcc, v0, v6, vcc
	v_lshlrev_b64 v[5:6], 3, v[7:8]
	s_waitcnt lgkmcnt(0)
	s_mul_i32 s0, s12, s11
	v_add_co_u32_e32 v5, vcc, v11, v5
	v_addc_co_u32_e32 v6, vcc, v0, v6, vcc
	global_load_dwordx2 v[5:6], v[5:6], off
	s_mul_hi_u32 s1, s12, s10
	s_mul_i32 s6, s13, s10
	s_mul_i32 s7, s12, s10
	s_add_i32 s0, s1, s0
	s_mul_i32 s10, s7, s15
	s_mul_hi_u32 s11, s7, s14
	s_add_i32 s0, s0, s6
	s_mul_i32 s7, s7, s14
	s_add_i32 s1, s11, s10
	s_mul_i32 s0, s0, s14
	s_mul_i32 s12, s7, s3
	s_mul_hi_u32 s13, s7, s16
	s_add_i32 s0, s1, s0
	s_add_i32 s10, s13, s12
	s_mul_i32 s0, s0, s16
	s_mul_i32 s7, s7, s16
	s_add_i32 s10, s10, s0
	s_add_u32 s0, s8, s7
	s_addc_u32 s1, s9, s10
	v_mov_b32_e32 v0, s1
	s_waitcnt vmcnt(0)
	v_add_co_u32_e32 v5, vcc, s0, v5
	v_addc_co_u32_e32 v6, vcc, v0, v6, vcc
	global_load_ubyte v7, v[5:6], off
	s_load_dwordx8 s[8:15], s[4:5], 0x90
	s_load_dwordx2 s[0:1], s[4:5], 0x68
	s_waitcnt lgkmcnt(0)
	s_mul_i32 s3, s8, s3
	s_mul_hi_u32 s4, s8, s16
	s_add_i32 s3, s4, s3
	s_mul_i32 s4, s9, s16
	s_add_i32 s3, s3, s4
	s_mul_i32 s4, s8, s16
	s_add_u32 s0, s0, s4
	s_addc_u32 s1, s1, s3
	s_mul_i32 s3, s10, s17
	s_mul_hi_u32 s4, s10, s2
	s_add_i32 s3, s4, s3
	s_mul_i32 s4, s11, s2
	s_add_i32 s3, s3, s4
	s_mul_i32 s2, s10, s2
	s_add_u32 s0, s0, s2
	s_addc_u32 s1, s1, s3
	v_mov_b32_e32 v6, s1
	v_mov_b32_e32 v5, s0
	v_mad_u64_u32 v[5:6], s[0:1], s12, v1, v[5:6]
	v_mul_lo_u32 v0, s12, v2
	v_mul_lo_u32 v1, s13, v1
	;; [unrolled: 1-line block ×3, first 2 shown]
	v_add3_u32 v6, v1, v6, v0
	v_mad_u64_u32 v[0:1], s[0:1], s14, v3, v[5:6]
	v_mul_lo_u32 v3, s15, v3
	v_add3_u32 v1, v3, v1, v2
	s_waitcnt vmcnt(0)
	global_store_byte v[0:1], v7, off
.LBB28_6:
	s_endpgm
.LBB28_7:
                                        ; implicit-def: $sgpr16_sgpr17
	s_lshr_b32 s1, s14, 16
	s_branch .LBB28_2
	.section	.rodata,"a",@progbits
	.p2align	6, 0x0
	.amdhsa_kernel _ZN2at6native31max_unpooling3d_backward_kernelIaEEvPKT_lllN5torch10headeronly6detail27GenericPackedTensorAccessorINS7_14TensorAccessorIN3c108ArrayRefIlEElLm3ENS6_16DefaultPtrTraitsElEENS_6detail16IndexBoundsCheckILm4ElEElLm4ESD_lEENS8_INS9_ISC_S2_Lm3ESD_lEESH_S2_Lm4ESD_lEEi
		.amdhsa_group_segment_fixed_size 0
		.amdhsa_private_segment_fixed_size 0
		.amdhsa_kernarg_size 440
		.amdhsa_user_sgpr_count 6
		.amdhsa_user_sgpr_private_segment_buffer 1
		.amdhsa_user_sgpr_dispatch_ptr 0
		.amdhsa_user_sgpr_queue_ptr 0
		.amdhsa_user_sgpr_kernarg_segment_ptr 1
		.amdhsa_user_sgpr_dispatch_id 0
		.amdhsa_user_sgpr_flat_scratch_init 0
		.amdhsa_user_sgpr_private_segment_size 0
		.amdhsa_uses_dynamic_stack 0
		.amdhsa_system_sgpr_private_segment_wavefront_offset 0
		.amdhsa_system_sgpr_workgroup_id_x 1
		.amdhsa_system_sgpr_workgroup_id_y 1
		.amdhsa_system_sgpr_workgroup_id_z 1
		.amdhsa_system_sgpr_workgroup_info 0
		.amdhsa_system_vgpr_workitem_id 1
		.amdhsa_next_free_vgpr 12
		.amdhsa_next_free_sgpr 27
		.amdhsa_reserve_vcc 1
		.amdhsa_reserve_flat_scratch 0
		.amdhsa_float_round_mode_32 0
		.amdhsa_float_round_mode_16_64 0
		.amdhsa_float_denorm_mode_32 3
		.amdhsa_float_denorm_mode_16_64 3
		.amdhsa_dx10_clamp 1
		.amdhsa_ieee_mode 1
		.amdhsa_fp16_overflow 0
		.amdhsa_exception_fp_ieee_invalid_op 0
		.amdhsa_exception_fp_denorm_src 0
		.amdhsa_exception_fp_ieee_div_zero 0
		.amdhsa_exception_fp_ieee_overflow 0
		.amdhsa_exception_fp_ieee_underflow 0
		.amdhsa_exception_fp_ieee_inexact 0
		.amdhsa_exception_int_div_zero 0
	.end_amdhsa_kernel
	.section	.text._ZN2at6native31max_unpooling3d_backward_kernelIaEEvPKT_lllN5torch10headeronly6detail27GenericPackedTensorAccessorINS7_14TensorAccessorIN3c108ArrayRefIlEElLm3ENS6_16DefaultPtrTraitsElEENS_6detail16IndexBoundsCheckILm4ElEElLm4ESD_lEENS8_INS9_ISC_S2_Lm3ESD_lEESH_S2_Lm4ESD_lEEi,"axG",@progbits,_ZN2at6native31max_unpooling3d_backward_kernelIaEEvPKT_lllN5torch10headeronly6detail27GenericPackedTensorAccessorINS7_14TensorAccessorIN3c108ArrayRefIlEElLm3ENS6_16DefaultPtrTraitsElEENS_6detail16IndexBoundsCheckILm4ElEElLm4ESD_lEENS8_INS9_ISC_S2_Lm3ESD_lEESH_S2_Lm4ESD_lEEi,comdat
.Lfunc_end28:
	.size	_ZN2at6native31max_unpooling3d_backward_kernelIaEEvPKT_lllN5torch10headeronly6detail27GenericPackedTensorAccessorINS7_14TensorAccessorIN3c108ArrayRefIlEElLm3ENS6_16DefaultPtrTraitsElEENS_6detail16IndexBoundsCheckILm4ElEElLm4ESD_lEENS8_INS9_ISC_S2_Lm3ESD_lEESH_S2_Lm4ESD_lEEi, .Lfunc_end28-_ZN2at6native31max_unpooling3d_backward_kernelIaEEvPKT_lllN5torch10headeronly6detail27GenericPackedTensorAccessorINS7_14TensorAccessorIN3c108ArrayRefIlEElLm3ENS6_16DefaultPtrTraitsElEENS_6detail16IndexBoundsCheckILm4ElEElLm4ESD_lEENS8_INS9_ISC_S2_Lm3ESD_lEESH_S2_Lm4ESD_lEEi
                                        ; -- End function
	.set _ZN2at6native31max_unpooling3d_backward_kernelIaEEvPKT_lllN5torch10headeronly6detail27GenericPackedTensorAccessorINS7_14TensorAccessorIN3c108ArrayRefIlEElLm3ENS6_16DefaultPtrTraitsElEENS_6detail16IndexBoundsCheckILm4ElEElLm4ESD_lEENS8_INS9_ISC_S2_Lm3ESD_lEESH_S2_Lm4ESD_lEEi.num_vgpr, 12
	.set _ZN2at6native31max_unpooling3d_backward_kernelIaEEvPKT_lllN5torch10headeronly6detail27GenericPackedTensorAccessorINS7_14TensorAccessorIN3c108ArrayRefIlEElLm3ENS6_16DefaultPtrTraitsElEENS_6detail16IndexBoundsCheckILm4ElEElLm4ESD_lEENS8_INS9_ISC_S2_Lm3ESD_lEESH_S2_Lm4ESD_lEEi.num_agpr, 0
	.set _ZN2at6native31max_unpooling3d_backward_kernelIaEEvPKT_lllN5torch10headeronly6detail27GenericPackedTensorAccessorINS7_14TensorAccessorIN3c108ArrayRefIlEElLm3ENS6_16DefaultPtrTraitsElEENS_6detail16IndexBoundsCheckILm4ElEElLm4ESD_lEENS8_INS9_ISC_S2_Lm3ESD_lEESH_S2_Lm4ESD_lEEi.numbered_sgpr, 27
	.set _ZN2at6native31max_unpooling3d_backward_kernelIaEEvPKT_lllN5torch10headeronly6detail27GenericPackedTensorAccessorINS7_14TensorAccessorIN3c108ArrayRefIlEElLm3ENS6_16DefaultPtrTraitsElEENS_6detail16IndexBoundsCheckILm4ElEElLm4ESD_lEENS8_INS9_ISC_S2_Lm3ESD_lEESH_S2_Lm4ESD_lEEi.num_named_barrier, 0
	.set _ZN2at6native31max_unpooling3d_backward_kernelIaEEvPKT_lllN5torch10headeronly6detail27GenericPackedTensorAccessorINS7_14TensorAccessorIN3c108ArrayRefIlEElLm3ENS6_16DefaultPtrTraitsElEENS_6detail16IndexBoundsCheckILm4ElEElLm4ESD_lEENS8_INS9_ISC_S2_Lm3ESD_lEESH_S2_Lm4ESD_lEEi.private_seg_size, 0
	.set _ZN2at6native31max_unpooling3d_backward_kernelIaEEvPKT_lllN5torch10headeronly6detail27GenericPackedTensorAccessorINS7_14TensorAccessorIN3c108ArrayRefIlEElLm3ENS6_16DefaultPtrTraitsElEENS_6detail16IndexBoundsCheckILm4ElEElLm4ESD_lEENS8_INS9_ISC_S2_Lm3ESD_lEESH_S2_Lm4ESD_lEEi.uses_vcc, 1
	.set _ZN2at6native31max_unpooling3d_backward_kernelIaEEvPKT_lllN5torch10headeronly6detail27GenericPackedTensorAccessorINS7_14TensorAccessorIN3c108ArrayRefIlEElLm3ENS6_16DefaultPtrTraitsElEENS_6detail16IndexBoundsCheckILm4ElEElLm4ESD_lEENS8_INS9_ISC_S2_Lm3ESD_lEESH_S2_Lm4ESD_lEEi.uses_flat_scratch, 0
	.set _ZN2at6native31max_unpooling3d_backward_kernelIaEEvPKT_lllN5torch10headeronly6detail27GenericPackedTensorAccessorINS7_14TensorAccessorIN3c108ArrayRefIlEElLm3ENS6_16DefaultPtrTraitsElEENS_6detail16IndexBoundsCheckILm4ElEElLm4ESD_lEENS8_INS9_ISC_S2_Lm3ESD_lEESH_S2_Lm4ESD_lEEi.has_dyn_sized_stack, 0
	.set _ZN2at6native31max_unpooling3d_backward_kernelIaEEvPKT_lllN5torch10headeronly6detail27GenericPackedTensorAccessorINS7_14TensorAccessorIN3c108ArrayRefIlEElLm3ENS6_16DefaultPtrTraitsElEENS_6detail16IndexBoundsCheckILm4ElEElLm4ESD_lEENS8_INS9_ISC_S2_Lm3ESD_lEESH_S2_Lm4ESD_lEEi.has_recursion, 0
	.set _ZN2at6native31max_unpooling3d_backward_kernelIaEEvPKT_lllN5torch10headeronly6detail27GenericPackedTensorAccessorINS7_14TensorAccessorIN3c108ArrayRefIlEElLm3ENS6_16DefaultPtrTraitsElEENS_6detail16IndexBoundsCheckILm4ElEElLm4ESD_lEENS8_INS9_ISC_S2_Lm3ESD_lEESH_S2_Lm4ESD_lEEi.has_indirect_call, 0
	.section	.AMDGPU.csdata,"",@progbits
; Kernel info:
; codeLenInByte = 1300
; TotalNumSgprs: 31
; NumVgprs: 12
; ScratchSize: 0
; MemoryBound: 0
; FloatMode: 240
; IeeeMode: 1
; LDSByteSize: 0 bytes/workgroup (compile time only)
; SGPRBlocks: 3
; VGPRBlocks: 2
; NumSGPRsForWavesPerEU: 31
; NumVGPRsForWavesPerEU: 12
; Occupancy: 10
; WaveLimiterHint : 1
; COMPUTE_PGM_RSRC2:SCRATCH_EN: 0
; COMPUTE_PGM_RSRC2:USER_SGPR: 6
; COMPUTE_PGM_RSRC2:TRAP_HANDLER: 0
; COMPUTE_PGM_RSRC2:TGID_X_EN: 1
; COMPUTE_PGM_RSRC2:TGID_Y_EN: 1
; COMPUTE_PGM_RSRC2:TGID_Z_EN: 1
; COMPUTE_PGM_RSRC2:TIDIG_COMP_CNT: 1
	.section	.text._ZN2at6native31max_unpooling3d_backward_kernelIiEEvPKT_lllN5torch10headeronly6detail27GenericPackedTensorAccessorINS7_14TensorAccessorIN3c108ArrayRefIlEElLm3ENS6_16DefaultPtrTraitsElEENS_6detail16IndexBoundsCheckILm4ElEElLm4ESD_lEENS8_INS9_ISC_S2_Lm3ESD_lEESH_S2_Lm4ESD_lEEi,"axG",@progbits,_ZN2at6native31max_unpooling3d_backward_kernelIiEEvPKT_lllN5torch10headeronly6detail27GenericPackedTensorAccessorINS7_14TensorAccessorIN3c108ArrayRefIlEElLm3ENS6_16DefaultPtrTraitsElEENS_6detail16IndexBoundsCheckILm4ElEElLm4ESD_lEENS8_INS9_ISC_S2_Lm3ESD_lEESH_S2_Lm4ESD_lEEi,comdat
	.protected	_ZN2at6native31max_unpooling3d_backward_kernelIiEEvPKT_lllN5torch10headeronly6detail27GenericPackedTensorAccessorINS7_14TensorAccessorIN3c108ArrayRefIlEElLm3ENS6_16DefaultPtrTraitsElEENS_6detail16IndexBoundsCheckILm4ElEElLm4ESD_lEENS8_INS9_ISC_S2_Lm3ESD_lEESH_S2_Lm4ESD_lEEi ; -- Begin function _ZN2at6native31max_unpooling3d_backward_kernelIiEEvPKT_lllN5torch10headeronly6detail27GenericPackedTensorAccessorINS7_14TensorAccessorIN3c108ArrayRefIlEElLm3ENS6_16DefaultPtrTraitsElEENS_6detail16IndexBoundsCheckILm4ElEElLm4ESD_lEENS8_INS9_ISC_S2_Lm3ESD_lEESH_S2_Lm4ESD_lEEi
	.globl	_ZN2at6native31max_unpooling3d_backward_kernelIiEEvPKT_lllN5torch10headeronly6detail27GenericPackedTensorAccessorINS7_14TensorAccessorIN3c108ArrayRefIlEElLm3ENS6_16DefaultPtrTraitsElEENS_6detail16IndexBoundsCheckILm4ElEElLm4ESD_lEENS8_INS9_ISC_S2_Lm3ESD_lEESH_S2_Lm4ESD_lEEi
	.p2align	8
	.type	_ZN2at6native31max_unpooling3d_backward_kernelIiEEvPKT_lllN5torch10headeronly6detail27GenericPackedTensorAccessorINS7_14TensorAccessorIN3c108ArrayRefIlEElLm3ENS6_16DefaultPtrTraitsElEENS_6detail16IndexBoundsCheckILm4ElEElLm4ESD_lEENS8_INS9_ISC_S2_Lm3ESD_lEESH_S2_Lm4ESD_lEEi,@function
_ZN2at6native31max_unpooling3d_backward_kernelIiEEvPKT_lllN5torch10headeronly6detail27GenericPackedTensorAccessorINS7_14TensorAccessorIN3c108ArrayRefIlEElLm3ENS6_16DefaultPtrTraitsElEENS_6detail16IndexBoundsCheckILm4ElEElLm4ESD_lEENS8_INS9_ISC_S2_Lm3ESD_lEESH_S2_Lm4ESD_lEEi: ; @_ZN2at6native31max_unpooling3d_backward_kernelIiEEvPKT_lllN5torch10headeronly6detail27GenericPackedTensorAccessorINS7_14TensorAccessorIN3c108ArrayRefIlEElLm3ENS6_16DefaultPtrTraitsElEENS_6detail16IndexBoundsCheckILm4ElEElLm4ESD_lEENS8_INS9_ISC_S2_Lm3ESD_lEESH_S2_Lm4ESD_lEEi
; %bb.0:
	s_load_dword s9, s[4:5], 0xb0
	s_load_dwordx2 s[0:1], s[4:5], 0x78
	s_load_dword s14, s[4:5], 0xc4
	s_add_u32 s2, s4, 0xb8
	s_addc_u32 s3, s5, 0
	s_waitcnt lgkmcnt(0)
	s_add_i32 s18, s9, s8
	s_mov_b32 s8, 0
	s_mov_b32 s9, s1
	s_cmp_lg_u64 s[8:9], 0
	s_cbranch_scc0 .LBB29_7
; %bb.1:
	s_ashr_i32 s10, s1, 31
	s_add_u32 s8, s0, s10
	s_mov_b32 s11, s10
	s_addc_u32 s9, s1, s10
	s_xor_b64 s[12:13], s[8:9], s[10:11]
	v_cvt_f32_u32_e32 v2, s12
	v_cvt_f32_u32_e32 v3, s13
	s_sub_u32 s1, 0, s12
	s_subb_u32 s15, 0, s13
	v_madmk_f32 v2, v3, 0x4f800000, v2
	v_rcp_f32_e32 v2, v2
	v_mul_f32_e32 v2, 0x5f7ffffc, v2
	v_mul_f32_e32 v3, 0x2f800000, v2
	v_trunc_f32_e32 v3, v3
	v_madmk_f32 v2, v3, 0xcf800000, v2
	v_cvt_u32_f32_e32 v3, v3
	v_cvt_u32_f32_e32 v2, v2
	v_readfirstlane_b32 s19, v3
	v_readfirstlane_b32 s16, v2
	s_mul_i32 s17, s1, s19
	s_mul_hi_u32 s21, s1, s16
	s_mul_i32 s20, s15, s16
	s_add_i32 s17, s21, s17
	s_add_i32 s17, s17, s20
	s_mul_i32 s22, s1, s16
	s_mul_i32 s21, s16, s17
	s_mul_hi_u32 s23, s16, s22
	s_mul_hi_u32 s20, s16, s17
	s_add_u32 s21, s23, s21
	s_addc_u32 s20, 0, s20
	s_mul_hi_u32 s24, s19, s22
	s_mul_i32 s22, s19, s22
	s_add_u32 s21, s21, s22
	s_mul_hi_u32 s23, s19, s17
	s_addc_u32 s20, s20, s24
	s_addc_u32 s21, s23, 0
	s_mul_i32 s17, s19, s17
	s_add_u32 s17, s20, s17
	s_addc_u32 s20, 0, s21
	s_add_u32 s21, s16, s17
	s_cselect_b64 s[16:17], -1, 0
	s_cmp_lg_u64 s[16:17], 0
	s_addc_u32 s19, s19, s20
	s_mul_i32 s16, s1, s19
	s_mul_hi_u32 s17, s1, s21
	s_add_i32 s16, s17, s16
	s_mul_i32 s15, s15, s21
	s_add_i32 s16, s16, s15
	s_mul_i32 s1, s1, s21
	s_mul_hi_u32 s17, s19, s1
	s_mul_i32 s20, s19, s1
	s_mul_i32 s23, s21, s16
	s_mul_hi_u32 s1, s21, s1
	s_mul_hi_u32 s22, s21, s16
	s_add_u32 s1, s1, s23
	s_addc_u32 s22, 0, s22
	s_add_u32 s1, s1, s20
	s_mul_hi_u32 s15, s19, s16
	s_addc_u32 s1, s22, s17
	s_addc_u32 s15, s15, 0
	s_mul_i32 s16, s19, s16
	s_add_u32 s1, s1, s16
	s_addc_u32 s15, 0, s15
	s_add_u32 s1, s21, s1
	s_cselect_b64 s[16:17], -1, 0
	s_cmp_lg_u64 s[16:17], 0
	s_addc_u32 s15, s19, s15
	s_add_u32 s16, s18, 0
	s_addc_u32 s17, 0, 0
	s_xor_b64 s[16:17], s[16:17], 0
	s_mul_i32 s20, s16, s15
	s_mul_hi_u32 s21, s16, s1
	s_mul_hi_u32 s19, s16, s15
	s_add_u32 s20, s21, s20
	s_addc_u32 s19, 0, s19
	s_mul_hi_u32 s22, s17, s1
	s_mul_i32 s1, s17, s1
	s_add_u32 s1, s20, s1
	s_mul_hi_u32 s21, s17, s15
	s_addc_u32 s1, s19, s22
	s_addc_u32 s19, s21, 0
	s_mul_i32 s15, s17, s15
	s_add_u32 s1, s1, s15
	s_addc_u32 s15, 0, s19
	s_mul_i32 s19, s12, s15
	s_mul_hi_u32 s20, s12, s1
	s_add_i32 s19, s20, s19
	s_mul_i32 s20, s13, s1
	s_add_i32 s19, s19, s20
	s_sub_i32 s22, s17, s19
	s_mul_i32 s20, s12, s1
	s_sub_u32 s16, s16, s20
	s_cselect_b64 s[20:21], -1, 0
	s_cmp_lg_u64 s[20:21], 0
	s_subb_u32 s24, s22, s13
	s_sub_u32 s25, s16, s12
	s_cselect_b64 s[22:23], -1, 0
	s_cmp_lg_u64 s[22:23], 0
	s_subb_u32 s22, s24, 0
	s_cmp_ge_u32 s22, s13
	s_cselect_b32 s23, -1, 0
	s_cmp_ge_u32 s25, s12
	s_cselect_b32 s24, -1, 0
	s_cmp_eq_u32 s22, s13
	s_cselect_b32 s22, s24, s23
	s_add_u32 s23, s1, 1
	s_addc_u32 s24, s15, 0
	s_add_u32 s25, s1, 2
	s_addc_u32 s26, s15, 0
	s_cmp_lg_u32 s22, 0
	s_cselect_b32 s22, s25, s23
	s_cselect_b32 s23, s26, s24
	s_cmp_lg_u64 s[20:21], 0
	s_subb_u32 s17, s17, s19
	s_cmp_ge_u32 s17, s13
	s_cselect_b32 s19, -1, 0
	s_cmp_ge_u32 s16, s12
	s_cselect_b32 s12, -1, 0
	s_cmp_eq_u32 s17, s13
	s_cselect_b32 s12, s12, s19
	s_cmp_lg_u32 s12, 0
	s_cselect_b32 s13, s23, s15
	s_cselect_b32 s12, s22, s1
	s_xor_b64 s[10:11], 0, s[10:11]
	s_xor_b64 s[12:13], s[12:13], s[10:11]
	s_sub_u32 s16, s12, s10
	s_subb_u32 s17, s13, s11
	s_lshr_b32 s1, s14, 16
	s_cbranch_execnz .LBB29_3
.LBB29_2:
	v_cvt_f32_u32_e32 v2, s0
	s_sub_i32 s8, 0, s0
	s_mov_b32 s17, 0
	v_rcp_iflag_f32_e32 v2, v2
	v_mul_f32_e32 v2, 0x4f7ffffe, v2
	v_cvt_u32_f32_e32 v2, v2
	v_readfirstlane_b32 s9, v2
	s_mul_i32 s8, s8, s9
	s_mul_hi_u32 s8, s9, s8
	s_add_i32 s9, s9, s8
	s_mul_hi_u32 s8, s18, s9
	s_mul_i32 s10, s8, s0
	s_sub_i32 s10, s18, s10
	s_add_i32 s9, s8, 1
	s_sub_i32 s11, s10, s0
	s_cmp_ge_u32 s10, s0
	s_cselect_b32 s8, s9, s8
	s_cselect_b32 s10, s11, s10
	s_add_i32 s9, s8, 1
	s_cmp_ge_u32 s10, s0
	s_cselect_b32 s16, s9, s8
.LBB29_3:
	s_load_dwordx2 s[8:9], s[4:5], 0x80
	s_and_b32 s1, 0xffff, s1
	s_mul_i32 s7, s7, s1
	v_add_u32_e32 v1, s7, v1
	v_ashrrev_i32_e32 v2, 31, v1
	s_waitcnt lgkmcnt(0)
	v_cmp_gt_i64_e32 vcc, s[8:9], v[1:2]
	s_and_saveexec_b64 s[8:9], vcc
	s_cbranch_execz .LBB29_6
; %bb.4:
	s_load_dword s1, s[2:3], 0xc
	s_load_dwordx2 s[8:9], s[4:5], 0x88
	s_waitcnt lgkmcnt(0)
	s_and_b32 s1, s1, 0xffff
	s_mul_i32 s6, s6, s1
	v_add_u32_e32 v3, s6, v0
	v_ashrrev_i32_e32 v4, 31, v3
	v_cmp_gt_i64_e32 vcc, s[8:9], v[3:4]
	s_and_b64 exec, exec, vcc
	s_cbranch_execz .LBB29_6
; %bb.5:
	s_load_dwordx8 s[8:15], s[4:5], 0x48
	s_mul_i32 s6, s16, s0
	s_load_dwordx2 s[2:3], s[4:5], 0x20
	s_bfe_i64 s[0:1], s[16:17], 0x200000
	s_sub_i32 s17, s18, s6
	s_waitcnt lgkmcnt(0)
	s_mul_i32 s0, s8, s1
	s_mul_hi_u32 s6, s8, s16
	s_add_i32 s0, s6, s0
	s_mul_i32 s6, s9, s16
	s_add_i32 s7, s0, s6
	s_mul_i32 s6, s8, s16
	s_lshl_b64 s[6:7], s[6:7], 3
	s_add_u32 s0, s2, s6
	s_addc_u32 s8, s3, s7
	s_ashr_i32 s18, s17, 31
	s_mul_i32 s2, s10, s18
	s_mul_hi_u32 s3, s10, s17
	s_add_i32 s2, s3, s2
	s_mul_i32 s3, s11, s17
	s_add_i32 s3, s2, s3
	s_mul_i32 s2, s10, s17
	v_mul_lo_u32 v0, s13, v1
	v_mul_lo_u32 v7, s12, v2
	v_mad_u64_u32 v[5:6], s[6:7], s12, v1, 0
	s_lshl_b64 s[2:3], s[2:3], 3
	s_add_u32 s0, s0, s2
	s_addc_u32 s2, s8, s3
	v_add3_u32 v6, v6, v7, v0
	v_mov_b32_e32 v0, s2
	v_mul_lo_u32 v9, s15, v3
	v_mul_lo_u32 v10, s14, v4
	v_mad_u64_u32 v[7:8], s[2:3], s14, v3, 0
	v_lshlrev_b64 v[5:6], 3, v[5:6]
	s_load_dwordx8 s[8:15], s[4:5], 0x0
	v_add_co_u32_e32 v11, vcc, s0, v5
	v_add3_u32 v8, v8, v10, v9
	v_addc_co_u32_e32 v0, vcc, v0, v6, vcc
	v_lshlrev_b64 v[5:6], 3, v[7:8]
	s_waitcnt lgkmcnt(0)
	s_mul_i32 s0, s12, s11
	v_add_co_u32_e32 v5, vcc, v11, v5
	v_addc_co_u32_e32 v6, vcc, v0, v6, vcc
	global_load_dwordx2 v[5:6], v[5:6], off
	s_mul_hi_u32 s3, s12, s10
	s_mul_i32 s6, s13, s10
	s_mul_i32 s2, s12, s10
	s_add_i32 s0, s3, s0
	s_mul_i32 s7, s2, s15
	s_mul_hi_u32 s10, s2, s14
	s_add_i32 s0, s0, s6
	s_mul_i32 s2, s2, s14
	s_add_i32 s3, s10, s7
	s_mul_i32 s0, s0, s14
	s_mul_i32 s11, s2, s1
	s_mul_hi_u32 s12, s2, s16
	s_add_i32 s0, s3, s0
	s_add_i32 s7, s12, s11
	s_mul_i32 s0, s0, s16
	s_mul_i32 s2, s2, s16
	s_add_i32 s3, s7, s0
	s_lshl_b64 s[2:3], s[2:3], 2
	s_add_u32 s0, s8, s2
	s_addc_u32 s2, s9, s3
	v_mov_b32_e32 v0, s2
	s_waitcnt vmcnt(0)
	v_lshlrev_b64 v[5:6], 2, v[5:6]
	v_add_co_u32_e32 v5, vcc, s0, v5
	v_addc_co_u32_e32 v6, vcc, v0, v6, vcc
	global_load_dword v5, v[5:6], off
	s_load_dwordx8 s[8:15], s[4:5], 0x90
	s_load_dwordx2 s[2:3], s[4:5], 0x68
	s_waitcnt lgkmcnt(0)
	s_mul_i32 s0, s8, s1
	s_mul_hi_u32 s1, s8, s16
	s_add_i32 s0, s1, s0
	s_mul_i32 s1, s9, s16
	s_add_i32 s1, s0, s1
	s_mul_i32 s0, s8, s16
	s_lshl_b64 s[0:1], s[0:1], 2
	s_add_u32 s4, s2, s0
	s_addc_u32 s5, s3, s1
	s_mul_i32 s0, s10, s18
	s_mul_hi_u32 s1, s10, s17
	s_add_i32 s0, s1, s0
	s_mul_i32 s1, s11, s17
	s_add_i32 s1, s0, s1
	s_mul_i32 s0, s10, s17
	v_mul_lo_u32 v6, s13, v1
	v_mul_lo_u32 v2, s12, v2
	v_mad_u64_u32 v[0:1], s[2:3], s12, v1, 0
	s_lshl_b64 s[0:1], s[0:1], 2
	s_add_u32 s2, s4, s0
	s_addc_u32 s0, s5, s1
	v_add3_u32 v1, v1, v2, v6
	v_mov_b32_e32 v6, s0
	v_mul_lo_u32 v7, s15, v3
	v_mul_lo_u32 v4, s14, v4
	v_mad_u64_u32 v[2:3], s[0:1], s14, v3, 0
	v_lshlrev_b64 v[0:1], 2, v[0:1]
	v_add_co_u32_e32 v8, vcc, s2, v0
	v_add3_u32 v3, v3, v4, v7
	v_addc_co_u32_e32 v6, vcc, v6, v1, vcc
	v_lshlrev_b64 v[0:1], 2, v[2:3]
	v_add_co_u32_e32 v0, vcc, v8, v0
	v_addc_co_u32_e32 v1, vcc, v6, v1, vcc
	s_waitcnt vmcnt(0)
	global_store_dword v[0:1], v5, off
.LBB29_6:
	s_endpgm
.LBB29_7:
                                        ; implicit-def: $sgpr16_sgpr17
	s_lshr_b32 s1, s14, 16
	s_branch .LBB29_2
	.section	.rodata,"a",@progbits
	.p2align	6, 0x0
	.amdhsa_kernel _ZN2at6native31max_unpooling3d_backward_kernelIiEEvPKT_lllN5torch10headeronly6detail27GenericPackedTensorAccessorINS7_14TensorAccessorIN3c108ArrayRefIlEElLm3ENS6_16DefaultPtrTraitsElEENS_6detail16IndexBoundsCheckILm4ElEElLm4ESD_lEENS8_INS9_ISC_S2_Lm3ESD_lEESH_S2_Lm4ESD_lEEi
		.amdhsa_group_segment_fixed_size 0
		.amdhsa_private_segment_fixed_size 0
		.amdhsa_kernarg_size 440
		.amdhsa_user_sgpr_count 6
		.amdhsa_user_sgpr_private_segment_buffer 1
		.amdhsa_user_sgpr_dispatch_ptr 0
		.amdhsa_user_sgpr_queue_ptr 0
		.amdhsa_user_sgpr_kernarg_segment_ptr 1
		.amdhsa_user_sgpr_dispatch_id 0
		.amdhsa_user_sgpr_flat_scratch_init 0
		.amdhsa_user_sgpr_private_segment_size 0
		.amdhsa_uses_dynamic_stack 0
		.amdhsa_system_sgpr_private_segment_wavefront_offset 0
		.amdhsa_system_sgpr_workgroup_id_x 1
		.amdhsa_system_sgpr_workgroup_id_y 1
		.amdhsa_system_sgpr_workgroup_id_z 1
		.amdhsa_system_sgpr_workgroup_info 0
		.amdhsa_system_vgpr_workitem_id 1
		.amdhsa_next_free_vgpr 12
		.amdhsa_next_free_sgpr 27
		.amdhsa_reserve_vcc 1
		.amdhsa_reserve_flat_scratch 0
		.amdhsa_float_round_mode_32 0
		.amdhsa_float_round_mode_16_64 0
		.amdhsa_float_denorm_mode_32 3
		.amdhsa_float_denorm_mode_16_64 3
		.amdhsa_dx10_clamp 1
		.amdhsa_ieee_mode 1
		.amdhsa_fp16_overflow 0
		.amdhsa_exception_fp_ieee_invalid_op 0
		.amdhsa_exception_fp_denorm_src 0
		.amdhsa_exception_fp_ieee_div_zero 0
		.amdhsa_exception_fp_ieee_overflow 0
		.amdhsa_exception_fp_ieee_underflow 0
		.amdhsa_exception_fp_ieee_inexact 0
		.amdhsa_exception_int_div_zero 0
	.end_amdhsa_kernel
	.section	.text._ZN2at6native31max_unpooling3d_backward_kernelIiEEvPKT_lllN5torch10headeronly6detail27GenericPackedTensorAccessorINS7_14TensorAccessorIN3c108ArrayRefIlEElLm3ENS6_16DefaultPtrTraitsElEENS_6detail16IndexBoundsCheckILm4ElEElLm4ESD_lEENS8_INS9_ISC_S2_Lm3ESD_lEESH_S2_Lm4ESD_lEEi,"axG",@progbits,_ZN2at6native31max_unpooling3d_backward_kernelIiEEvPKT_lllN5torch10headeronly6detail27GenericPackedTensorAccessorINS7_14TensorAccessorIN3c108ArrayRefIlEElLm3ENS6_16DefaultPtrTraitsElEENS_6detail16IndexBoundsCheckILm4ElEElLm4ESD_lEENS8_INS9_ISC_S2_Lm3ESD_lEESH_S2_Lm4ESD_lEEi,comdat
.Lfunc_end29:
	.size	_ZN2at6native31max_unpooling3d_backward_kernelIiEEvPKT_lllN5torch10headeronly6detail27GenericPackedTensorAccessorINS7_14TensorAccessorIN3c108ArrayRefIlEElLm3ENS6_16DefaultPtrTraitsElEENS_6detail16IndexBoundsCheckILm4ElEElLm4ESD_lEENS8_INS9_ISC_S2_Lm3ESD_lEESH_S2_Lm4ESD_lEEi, .Lfunc_end29-_ZN2at6native31max_unpooling3d_backward_kernelIiEEvPKT_lllN5torch10headeronly6detail27GenericPackedTensorAccessorINS7_14TensorAccessorIN3c108ArrayRefIlEElLm3ENS6_16DefaultPtrTraitsElEENS_6detail16IndexBoundsCheckILm4ElEElLm4ESD_lEENS8_INS9_ISC_S2_Lm3ESD_lEESH_S2_Lm4ESD_lEEi
                                        ; -- End function
	.set _ZN2at6native31max_unpooling3d_backward_kernelIiEEvPKT_lllN5torch10headeronly6detail27GenericPackedTensorAccessorINS7_14TensorAccessorIN3c108ArrayRefIlEElLm3ENS6_16DefaultPtrTraitsElEENS_6detail16IndexBoundsCheckILm4ElEElLm4ESD_lEENS8_INS9_ISC_S2_Lm3ESD_lEESH_S2_Lm4ESD_lEEi.num_vgpr, 12
	.set _ZN2at6native31max_unpooling3d_backward_kernelIiEEvPKT_lllN5torch10headeronly6detail27GenericPackedTensorAccessorINS7_14TensorAccessorIN3c108ArrayRefIlEElLm3ENS6_16DefaultPtrTraitsElEENS_6detail16IndexBoundsCheckILm4ElEElLm4ESD_lEENS8_INS9_ISC_S2_Lm3ESD_lEESH_S2_Lm4ESD_lEEi.num_agpr, 0
	.set _ZN2at6native31max_unpooling3d_backward_kernelIiEEvPKT_lllN5torch10headeronly6detail27GenericPackedTensorAccessorINS7_14TensorAccessorIN3c108ArrayRefIlEElLm3ENS6_16DefaultPtrTraitsElEENS_6detail16IndexBoundsCheckILm4ElEElLm4ESD_lEENS8_INS9_ISC_S2_Lm3ESD_lEESH_S2_Lm4ESD_lEEi.numbered_sgpr, 27
	.set _ZN2at6native31max_unpooling3d_backward_kernelIiEEvPKT_lllN5torch10headeronly6detail27GenericPackedTensorAccessorINS7_14TensorAccessorIN3c108ArrayRefIlEElLm3ENS6_16DefaultPtrTraitsElEENS_6detail16IndexBoundsCheckILm4ElEElLm4ESD_lEENS8_INS9_ISC_S2_Lm3ESD_lEESH_S2_Lm4ESD_lEEi.num_named_barrier, 0
	.set _ZN2at6native31max_unpooling3d_backward_kernelIiEEvPKT_lllN5torch10headeronly6detail27GenericPackedTensorAccessorINS7_14TensorAccessorIN3c108ArrayRefIlEElLm3ENS6_16DefaultPtrTraitsElEENS_6detail16IndexBoundsCheckILm4ElEElLm4ESD_lEENS8_INS9_ISC_S2_Lm3ESD_lEESH_S2_Lm4ESD_lEEi.private_seg_size, 0
	.set _ZN2at6native31max_unpooling3d_backward_kernelIiEEvPKT_lllN5torch10headeronly6detail27GenericPackedTensorAccessorINS7_14TensorAccessorIN3c108ArrayRefIlEElLm3ENS6_16DefaultPtrTraitsElEENS_6detail16IndexBoundsCheckILm4ElEElLm4ESD_lEENS8_INS9_ISC_S2_Lm3ESD_lEESH_S2_Lm4ESD_lEEi.uses_vcc, 1
	.set _ZN2at6native31max_unpooling3d_backward_kernelIiEEvPKT_lllN5torch10headeronly6detail27GenericPackedTensorAccessorINS7_14TensorAccessorIN3c108ArrayRefIlEElLm3ENS6_16DefaultPtrTraitsElEENS_6detail16IndexBoundsCheckILm4ElEElLm4ESD_lEENS8_INS9_ISC_S2_Lm3ESD_lEESH_S2_Lm4ESD_lEEi.uses_flat_scratch, 0
	.set _ZN2at6native31max_unpooling3d_backward_kernelIiEEvPKT_lllN5torch10headeronly6detail27GenericPackedTensorAccessorINS7_14TensorAccessorIN3c108ArrayRefIlEElLm3ENS6_16DefaultPtrTraitsElEENS_6detail16IndexBoundsCheckILm4ElEElLm4ESD_lEENS8_INS9_ISC_S2_Lm3ESD_lEESH_S2_Lm4ESD_lEEi.has_dyn_sized_stack, 0
	.set _ZN2at6native31max_unpooling3d_backward_kernelIiEEvPKT_lllN5torch10headeronly6detail27GenericPackedTensorAccessorINS7_14TensorAccessorIN3c108ArrayRefIlEElLm3ENS6_16DefaultPtrTraitsElEENS_6detail16IndexBoundsCheckILm4ElEElLm4ESD_lEENS8_INS9_ISC_S2_Lm3ESD_lEESH_S2_Lm4ESD_lEEi.has_recursion, 0
	.set _ZN2at6native31max_unpooling3d_backward_kernelIiEEvPKT_lllN5torch10headeronly6detail27GenericPackedTensorAccessorINS7_14TensorAccessorIN3c108ArrayRefIlEElLm3ENS6_16DefaultPtrTraitsElEENS_6detail16IndexBoundsCheckILm4ElEElLm4ESD_lEENS8_INS9_ISC_S2_Lm3ESD_lEESH_S2_Lm4ESD_lEEi.has_indirect_call, 0
	.section	.AMDGPU.csdata,"",@progbits
; Kernel info:
; codeLenInByte = 1348
; TotalNumSgprs: 31
; NumVgprs: 12
; ScratchSize: 0
; MemoryBound: 0
; FloatMode: 240
; IeeeMode: 1
; LDSByteSize: 0 bytes/workgroup (compile time only)
; SGPRBlocks: 3
; VGPRBlocks: 2
; NumSGPRsForWavesPerEU: 31
; NumVGPRsForWavesPerEU: 12
; Occupancy: 10
; WaveLimiterHint : 1
; COMPUTE_PGM_RSRC2:SCRATCH_EN: 0
; COMPUTE_PGM_RSRC2:USER_SGPR: 6
; COMPUTE_PGM_RSRC2:TRAP_HANDLER: 0
; COMPUTE_PGM_RSRC2:TGID_X_EN: 1
; COMPUTE_PGM_RSRC2:TGID_Y_EN: 1
; COMPUTE_PGM_RSRC2:TGID_Z_EN: 1
; COMPUTE_PGM_RSRC2:TIDIG_COMP_CNT: 1
	.section	.text._ZN2at6native31max_unpooling3d_backward_kernelIlEEvPKT_lllN5torch10headeronly6detail27GenericPackedTensorAccessorINS7_14TensorAccessorIN3c108ArrayRefIlEElLm3ENS6_16DefaultPtrTraitsElEENS_6detail16IndexBoundsCheckILm4ElEElLm4ESD_lEENS8_INS9_ISC_S2_Lm3ESD_lEESH_S2_Lm4ESD_lEEi,"axG",@progbits,_ZN2at6native31max_unpooling3d_backward_kernelIlEEvPKT_lllN5torch10headeronly6detail27GenericPackedTensorAccessorINS7_14TensorAccessorIN3c108ArrayRefIlEElLm3ENS6_16DefaultPtrTraitsElEENS_6detail16IndexBoundsCheckILm4ElEElLm4ESD_lEENS8_INS9_ISC_S2_Lm3ESD_lEESH_S2_Lm4ESD_lEEi,comdat
	.protected	_ZN2at6native31max_unpooling3d_backward_kernelIlEEvPKT_lllN5torch10headeronly6detail27GenericPackedTensorAccessorINS7_14TensorAccessorIN3c108ArrayRefIlEElLm3ENS6_16DefaultPtrTraitsElEENS_6detail16IndexBoundsCheckILm4ElEElLm4ESD_lEENS8_INS9_ISC_S2_Lm3ESD_lEESH_S2_Lm4ESD_lEEi ; -- Begin function _ZN2at6native31max_unpooling3d_backward_kernelIlEEvPKT_lllN5torch10headeronly6detail27GenericPackedTensorAccessorINS7_14TensorAccessorIN3c108ArrayRefIlEElLm3ENS6_16DefaultPtrTraitsElEENS_6detail16IndexBoundsCheckILm4ElEElLm4ESD_lEENS8_INS9_ISC_S2_Lm3ESD_lEESH_S2_Lm4ESD_lEEi
	.globl	_ZN2at6native31max_unpooling3d_backward_kernelIlEEvPKT_lllN5torch10headeronly6detail27GenericPackedTensorAccessorINS7_14TensorAccessorIN3c108ArrayRefIlEElLm3ENS6_16DefaultPtrTraitsElEENS_6detail16IndexBoundsCheckILm4ElEElLm4ESD_lEENS8_INS9_ISC_S2_Lm3ESD_lEESH_S2_Lm4ESD_lEEi
	.p2align	8
	.type	_ZN2at6native31max_unpooling3d_backward_kernelIlEEvPKT_lllN5torch10headeronly6detail27GenericPackedTensorAccessorINS7_14TensorAccessorIN3c108ArrayRefIlEElLm3ENS6_16DefaultPtrTraitsElEENS_6detail16IndexBoundsCheckILm4ElEElLm4ESD_lEENS8_INS9_ISC_S2_Lm3ESD_lEESH_S2_Lm4ESD_lEEi,@function
_ZN2at6native31max_unpooling3d_backward_kernelIlEEvPKT_lllN5torch10headeronly6detail27GenericPackedTensorAccessorINS7_14TensorAccessorIN3c108ArrayRefIlEElLm3ENS6_16DefaultPtrTraitsElEENS_6detail16IndexBoundsCheckILm4ElEElLm4ESD_lEENS8_INS9_ISC_S2_Lm3ESD_lEESH_S2_Lm4ESD_lEEi: ; @_ZN2at6native31max_unpooling3d_backward_kernelIlEEvPKT_lllN5torch10headeronly6detail27GenericPackedTensorAccessorINS7_14TensorAccessorIN3c108ArrayRefIlEElLm3ENS6_16DefaultPtrTraitsElEENS_6detail16IndexBoundsCheckILm4ElEElLm4ESD_lEENS8_INS9_ISC_S2_Lm3ESD_lEESH_S2_Lm4ESD_lEEi
; %bb.0:
	s_load_dword s9, s[4:5], 0xb0
	s_load_dwordx2 s[0:1], s[4:5], 0x78
	s_load_dword s14, s[4:5], 0xc4
	s_add_u32 s2, s4, 0xb8
	s_addc_u32 s3, s5, 0
	s_waitcnt lgkmcnt(0)
	s_add_i32 s18, s9, s8
	s_mov_b32 s8, 0
	s_mov_b32 s9, s1
	s_cmp_lg_u64 s[8:9], 0
	s_cbranch_scc0 .LBB30_7
; %bb.1:
	s_ashr_i32 s10, s1, 31
	s_add_u32 s8, s0, s10
	s_mov_b32 s11, s10
	s_addc_u32 s9, s1, s10
	s_xor_b64 s[12:13], s[8:9], s[10:11]
	v_cvt_f32_u32_e32 v2, s12
	v_cvt_f32_u32_e32 v3, s13
	s_sub_u32 s1, 0, s12
	s_subb_u32 s15, 0, s13
	v_madmk_f32 v2, v3, 0x4f800000, v2
	v_rcp_f32_e32 v2, v2
	v_mul_f32_e32 v2, 0x5f7ffffc, v2
	v_mul_f32_e32 v3, 0x2f800000, v2
	v_trunc_f32_e32 v3, v3
	v_madmk_f32 v2, v3, 0xcf800000, v2
	v_cvt_u32_f32_e32 v3, v3
	v_cvt_u32_f32_e32 v2, v2
	v_readfirstlane_b32 s19, v3
	v_readfirstlane_b32 s16, v2
	s_mul_i32 s17, s1, s19
	s_mul_hi_u32 s21, s1, s16
	s_mul_i32 s20, s15, s16
	s_add_i32 s17, s21, s17
	s_add_i32 s17, s17, s20
	s_mul_i32 s22, s1, s16
	s_mul_i32 s21, s16, s17
	s_mul_hi_u32 s23, s16, s22
	s_mul_hi_u32 s20, s16, s17
	s_add_u32 s21, s23, s21
	s_addc_u32 s20, 0, s20
	s_mul_hi_u32 s24, s19, s22
	s_mul_i32 s22, s19, s22
	s_add_u32 s21, s21, s22
	s_mul_hi_u32 s23, s19, s17
	s_addc_u32 s20, s20, s24
	s_addc_u32 s21, s23, 0
	s_mul_i32 s17, s19, s17
	s_add_u32 s17, s20, s17
	s_addc_u32 s20, 0, s21
	s_add_u32 s21, s16, s17
	s_cselect_b64 s[16:17], -1, 0
	s_cmp_lg_u64 s[16:17], 0
	s_addc_u32 s19, s19, s20
	s_mul_i32 s16, s1, s19
	s_mul_hi_u32 s17, s1, s21
	s_add_i32 s16, s17, s16
	s_mul_i32 s15, s15, s21
	s_add_i32 s16, s16, s15
	s_mul_i32 s1, s1, s21
	s_mul_hi_u32 s17, s19, s1
	s_mul_i32 s20, s19, s1
	s_mul_i32 s23, s21, s16
	s_mul_hi_u32 s1, s21, s1
	s_mul_hi_u32 s22, s21, s16
	s_add_u32 s1, s1, s23
	s_addc_u32 s22, 0, s22
	s_add_u32 s1, s1, s20
	s_mul_hi_u32 s15, s19, s16
	s_addc_u32 s1, s22, s17
	s_addc_u32 s15, s15, 0
	s_mul_i32 s16, s19, s16
	s_add_u32 s1, s1, s16
	s_addc_u32 s15, 0, s15
	s_add_u32 s1, s21, s1
	s_cselect_b64 s[16:17], -1, 0
	s_cmp_lg_u64 s[16:17], 0
	s_addc_u32 s15, s19, s15
	s_add_u32 s16, s18, 0
	s_addc_u32 s17, 0, 0
	s_xor_b64 s[16:17], s[16:17], 0
	s_mul_i32 s20, s16, s15
	s_mul_hi_u32 s21, s16, s1
	s_mul_hi_u32 s19, s16, s15
	s_add_u32 s20, s21, s20
	s_addc_u32 s19, 0, s19
	s_mul_hi_u32 s22, s17, s1
	s_mul_i32 s1, s17, s1
	s_add_u32 s1, s20, s1
	s_mul_hi_u32 s21, s17, s15
	s_addc_u32 s1, s19, s22
	s_addc_u32 s19, s21, 0
	s_mul_i32 s15, s17, s15
	s_add_u32 s1, s1, s15
	s_addc_u32 s15, 0, s19
	s_mul_i32 s19, s12, s15
	s_mul_hi_u32 s20, s12, s1
	s_add_i32 s19, s20, s19
	s_mul_i32 s20, s13, s1
	s_add_i32 s19, s19, s20
	s_sub_i32 s22, s17, s19
	s_mul_i32 s20, s12, s1
	s_sub_u32 s16, s16, s20
	s_cselect_b64 s[20:21], -1, 0
	s_cmp_lg_u64 s[20:21], 0
	s_subb_u32 s24, s22, s13
	s_sub_u32 s25, s16, s12
	s_cselect_b64 s[22:23], -1, 0
	s_cmp_lg_u64 s[22:23], 0
	s_subb_u32 s22, s24, 0
	s_cmp_ge_u32 s22, s13
	s_cselect_b32 s23, -1, 0
	s_cmp_ge_u32 s25, s12
	s_cselect_b32 s24, -1, 0
	s_cmp_eq_u32 s22, s13
	s_cselect_b32 s22, s24, s23
	s_add_u32 s23, s1, 1
	s_addc_u32 s24, s15, 0
	s_add_u32 s25, s1, 2
	s_addc_u32 s26, s15, 0
	s_cmp_lg_u32 s22, 0
	s_cselect_b32 s22, s25, s23
	s_cselect_b32 s23, s26, s24
	s_cmp_lg_u64 s[20:21], 0
	s_subb_u32 s17, s17, s19
	s_cmp_ge_u32 s17, s13
	s_cselect_b32 s19, -1, 0
	s_cmp_ge_u32 s16, s12
	s_cselect_b32 s12, -1, 0
	s_cmp_eq_u32 s17, s13
	s_cselect_b32 s12, s12, s19
	s_cmp_lg_u32 s12, 0
	s_cselect_b32 s13, s23, s15
	s_cselect_b32 s12, s22, s1
	s_xor_b64 s[10:11], 0, s[10:11]
	s_xor_b64 s[12:13], s[12:13], s[10:11]
	s_sub_u32 s16, s12, s10
	s_subb_u32 s17, s13, s11
	s_lshr_b32 s1, s14, 16
	s_cbranch_execnz .LBB30_3
.LBB30_2:
	v_cvt_f32_u32_e32 v2, s0
	s_sub_i32 s8, 0, s0
	s_mov_b32 s17, 0
	v_rcp_iflag_f32_e32 v2, v2
	v_mul_f32_e32 v2, 0x4f7ffffe, v2
	v_cvt_u32_f32_e32 v2, v2
	v_readfirstlane_b32 s9, v2
	s_mul_i32 s8, s8, s9
	s_mul_hi_u32 s8, s9, s8
	s_add_i32 s9, s9, s8
	s_mul_hi_u32 s8, s18, s9
	s_mul_i32 s10, s8, s0
	s_sub_i32 s10, s18, s10
	s_add_i32 s9, s8, 1
	s_sub_i32 s11, s10, s0
	s_cmp_ge_u32 s10, s0
	s_cselect_b32 s8, s9, s8
	s_cselect_b32 s10, s11, s10
	s_add_i32 s9, s8, 1
	s_cmp_ge_u32 s10, s0
	s_cselect_b32 s16, s9, s8
.LBB30_3:
	s_load_dwordx2 s[8:9], s[4:5], 0x80
	s_and_b32 s1, 0xffff, s1
	s_mul_i32 s7, s7, s1
	v_add_u32_e32 v1, s7, v1
	v_ashrrev_i32_e32 v2, 31, v1
	s_waitcnt lgkmcnt(0)
	v_cmp_gt_i64_e32 vcc, s[8:9], v[1:2]
	s_and_saveexec_b64 s[8:9], vcc
	s_cbranch_execz .LBB30_6
; %bb.4:
	s_load_dword s1, s[2:3], 0xc
	s_load_dwordx2 s[8:9], s[4:5], 0x88
	s_waitcnt lgkmcnt(0)
	s_and_b32 s1, s1, 0xffff
	s_mul_i32 s6, s6, s1
	v_add_u32_e32 v3, s6, v0
	v_ashrrev_i32_e32 v4, 31, v3
	v_cmp_gt_i64_e32 vcc, s[8:9], v[3:4]
	s_and_b64 exec, exec, vcc
	s_cbranch_execz .LBB30_6
; %bb.5:
	s_load_dwordx8 s[8:15], s[4:5], 0x48
	s_mul_i32 s6, s16, s0
	s_load_dwordx2 s[2:3], s[4:5], 0x20
	s_bfe_i64 s[0:1], s[16:17], 0x200000
	s_sub_i32 s17, s18, s6
	s_waitcnt lgkmcnt(0)
	s_mul_i32 s0, s8, s1
	s_mul_hi_u32 s6, s8, s16
	s_add_i32 s0, s6, s0
	s_mul_i32 s6, s9, s16
	s_add_i32 s7, s0, s6
	s_mul_i32 s6, s8, s16
	s_lshl_b64 s[6:7], s[6:7], 3
	s_add_u32 s0, s2, s6
	s_addc_u32 s8, s3, s7
	s_ashr_i32 s18, s17, 31
	s_mul_i32 s2, s10, s18
	s_mul_hi_u32 s3, s10, s17
	s_add_i32 s2, s3, s2
	s_mul_i32 s3, s11, s17
	s_add_i32 s3, s2, s3
	s_mul_i32 s2, s10, s17
	v_mul_lo_u32 v0, s13, v1
	v_mul_lo_u32 v7, s12, v2
	v_mad_u64_u32 v[5:6], s[6:7], s12, v1, 0
	s_lshl_b64 s[2:3], s[2:3], 3
	s_add_u32 s0, s0, s2
	s_addc_u32 s2, s8, s3
	v_add3_u32 v6, v6, v7, v0
	v_mov_b32_e32 v0, s2
	v_mul_lo_u32 v9, s15, v3
	v_mul_lo_u32 v10, s14, v4
	v_mad_u64_u32 v[7:8], s[2:3], s14, v3, 0
	v_lshlrev_b64 v[5:6], 3, v[5:6]
	s_load_dwordx8 s[8:15], s[4:5], 0x0
	v_add_co_u32_e32 v11, vcc, s0, v5
	v_add3_u32 v8, v8, v10, v9
	v_addc_co_u32_e32 v0, vcc, v0, v6, vcc
	v_lshlrev_b64 v[5:6], 3, v[7:8]
	s_waitcnt lgkmcnt(0)
	s_mul_i32 s0, s12, s11
	v_add_co_u32_e32 v5, vcc, v11, v5
	v_addc_co_u32_e32 v6, vcc, v0, v6, vcc
	global_load_dwordx2 v[5:6], v[5:6], off
	s_mul_hi_u32 s3, s12, s10
	s_mul_i32 s6, s13, s10
	s_mul_i32 s2, s12, s10
	s_add_i32 s0, s3, s0
	s_mul_i32 s7, s2, s15
	s_mul_hi_u32 s10, s2, s14
	s_add_i32 s0, s0, s6
	s_mul_i32 s2, s2, s14
	s_add_i32 s3, s10, s7
	s_mul_i32 s0, s0, s14
	s_mul_i32 s11, s2, s1
	s_mul_hi_u32 s12, s2, s16
	s_add_i32 s0, s3, s0
	s_add_i32 s7, s12, s11
	s_mul_i32 s0, s0, s16
	s_mul_i32 s2, s2, s16
	s_add_i32 s3, s7, s0
	s_lshl_b64 s[2:3], s[2:3], 3
	s_add_u32 s0, s8, s2
	s_addc_u32 s2, s9, s3
	v_mov_b32_e32 v0, s2
	s_waitcnt vmcnt(0)
	v_lshlrev_b64 v[5:6], 3, v[5:6]
	v_add_co_u32_e32 v5, vcc, s0, v5
	v_addc_co_u32_e32 v6, vcc, v0, v6, vcc
	global_load_dwordx2 v[5:6], v[5:6], off
	s_load_dwordx8 s[8:15], s[4:5], 0x90
	s_load_dwordx2 s[2:3], s[4:5], 0x68
	s_waitcnt lgkmcnt(0)
	s_mul_i32 s0, s8, s1
	s_mul_hi_u32 s1, s8, s16
	s_add_i32 s0, s1, s0
	s_mul_i32 s1, s9, s16
	s_add_i32 s1, s0, s1
	s_mul_i32 s0, s8, s16
	s_lshl_b64 s[0:1], s[0:1], 3
	s_add_u32 s4, s2, s0
	s_addc_u32 s5, s3, s1
	s_mul_i32 s0, s10, s18
	s_mul_hi_u32 s1, s10, s17
	s_add_i32 s0, s1, s0
	s_mul_i32 s1, s11, s17
	s_add_i32 s1, s0, s1
	s_mul_i32 s0, s10, s17
	v_mul_lo_u32 v7, s13, v1
	v_mul_lo_u32 v2, s12, v2
	v_mad_u64_u32 v[0:1], s[2:3], s12, v1, 0
	s_lshl_b64 s[0:1], s[0:1], 3
	s_add_u32 s2, s4, s0
	s_addc_u32 s0, s5, s1
	v_add3_u32 v1, v1, v2, v7
	v_mov_b32_e32 v7, s0
	v_mul_lo_u32 v8, s15, v3
	v_mul_lo_u32 v4, s14, v4
	v_mad_u64_u32 v[2:3], s[0:1], s14, v3, 0
	v_lshlrev_b64 v[0:1], 3, v[0:1]
	v_add_co_u32_e32 v9, vcc, s2, v0
	v_add3_u32 v3, v3, v4, v8
	v_addc_co_u32_e32 v7, vcc, v7, v1, vcc
	v_lshlrev_b64 v[0:1], 3, v[2:3]
	v_add_co_u32_e32 v0, vcc, v9, v0
	v_addc_co_u32_e32 v1, vcc, v7, v1, vcc
	s_waitcnt vmcnt(0)
	global_store_dwordx2 v[0:1], v[5:6], off
.LBB30_6:
	s_endpgm
.LBB30_7:
                                        ; implicit-def: $sgpr16_sgpr17
	s_lshr_b32 s1, s14, 16
	s_branch .LBB30_2
	.section	.rodata,"a",@progbits
	.p2align	6, 0x0
	.amdhsa_kernel _ZN2at6native31max_unpooling3d_backward_kernelIlEEvPKT_lllN5torch10headeronly6detail27GenericPackedTensorAccessorINS7_14TensorAccessorIN3c108ArrayRefIlEElLm3ENS6_16DefaultPtrTraitsElEENS_6detail16IndexBoundsCheckILm4ElEElLm4ESD_lEENS8_INS9_ISC_S2_Lm3ESD_lEESH_S2_Lm4ESD_lEEi
		.amdhsa_group_segment_fixed_size 0
		.amdhsa_private_segment_fixed_size 0
		.amdhsa_kernarg_size 440
		.amdhsa_user_sgpr_count 6
		.amdhsa_user_sgpr_private_segment_buffer 1
		.amdhsa_user_sgpr_dispatch_ptr 0
		.amdhsa_user_sgpr_queue_ptr 0
		.amdhsa_user_sgpr_kernarg_segment_ptr 1
		.amdhsa_user_sgpr_dispatch_id 0
		.amdhsa_user_sgpr_flat_scratch_init 0
		.amdhsa_user_sgpr_private_segment_size 0
		.amdhsa_uses_dynamic_stack 0
		.amdhsa_system_sgpr_private_segment_wavefront_offset 0
		.amdhsa_system_sgpr_workgroup_id_x 1
		.amdhsa_system_sgpr_workgroup_id_y 1
		.amdhsa_system_sgpr_workgroup_id_z 1
		.amdhsa_system_sgpr_workgroup_info 0
		.amdhsa_system_vgpr_workitem_id 1
		.amdhsa_next_free_vgpr 12
		.amdhsa_next_free_sgpr 27
		.amdhsa_reserve_vcc 1
		.amdhsa_reserve_flat_scratch 0
		.amdhsa_float_round_mode_32 0
		.amdhsa_float_round_mode_16_64 0
		.amdhsa_float_denorm_mode_32 3
		.amdhsa_float_denorm_mode_16_64 3
		.amdhsa_dx10_clamp 1
		.amdhsa_ieee_mode 1
		.amdhsa_fp16_overflow 0
		.amdhsa_exception_fp_ieee_invalid_op 0
		.amdhsa_exception_fp_denorm_src 0
		.amdhsa_exception_fp_ieee_div_zero 0
		.amdhsa_exception_fp_ieee_overflow 0
		.amdhsa_exception_fp_ieee_underflow 0
		.amdhsa_exception_fp_ieee_inexact 0
		.amdhsa_exception_int_div_zero 0
	.end_amdhsa_kernel
	.section	.text._ZN2at6native31max_unpooling3d_backward_kernelIlEEvPKT_lllN5torch10headeronly6detail27GenericPackedTensorAccessorINS7_14TensorAccessorIN3c108ArrayRefIlEElLm3ENS6_16DefaultPtrTraitsElEENS_6detail16IndexBoundsCheckILm4ElEElLm4ESD_lEENS8_INS9_ISC_S2_Lm3ESD_lEESH_S2_Lm4ESD_lEEi,"axG",@progbits,_ZN2at6native31max_unpooling3d_backward_kernelIlEEvPKT_lllN5torch10headeronly6detail27GenericPackedTensorAccessorINS7_14TensorAccessorIN3c108ArrayRefIlEElLm3ENS6_16DefaultPtrTraitsElEENS_6detail16IndexBoundsCheckILm4ElEElLm4ESD_lEENS8_INS9_ISC_S2_Lm3ESD_lEESH_S2_Lm4ESD_lEEi,comdat
.Lfunc_end30:
	.size	_ZN2at6native31max_unpooling3d_backward_kernelIlEEvPKT_lllN5torch10headeronly6detail27GenericPackedTensorAccessorINS7_14TensorAccessorIN3c108ArrayRefIlEElLm3ENS6_16DefaultPtrTraitsElEENS_6detail16IndexBoundsCheckILm4ElEElLm4ESD_lEENS8_INS9_ISC_S2_Lm3ESD_lEESH_S2_Lm4ESD_lEEi, .Lfunc_end30-_ZN2at6native31max_unpooling3d_backward_kernelIlEEvPKT_lllN5torch10headeronly6detail27GenericPackedTensorAccessorINS7_14TensorAccessorIN3c108ArrayRefIlEElLm3ENS6_16DefaultPtrTraitsElEENS_6detail16IndexBoundsCheckILm4ElEElLm4ESD_lEENS8_INS9_ISC_S2_Lm3ESD_lEESH_S2_Lm4ESD_lEEi
                                        ; -- End function
	.set _ZN2at6native31max_unpooling3d_backward_kernelIlEEvPKT_lllN5torch10headeronly6detail27GenericPackedTensorAccessorINS7_14TensorAccessorIN3c108ArrayRefIlEElLm3ENS6_16DefaultPtrTraitsElEENS_6detail16IndexBoundsCheckILm4ElEElLm4ESD_lEENS8_INS9_ISC_S2_Lm3ESD_lEESH_S2_Lm4ESD_lEEi.num_vgpr, 12
	.set _ZN2at6native31max_unpooling3d_backward_kernelIlEEvPKT_lllN5torch10headeronly6detail27GenericPackedTensorAccessorINS7_14TensorAccessorIN3c108ArrayRefIlEElLm3ENS6_16DefaultPtrTraitsElEENS_6detail16IndexBoundsCheckILm4ElEElLm4ESD_lEENS8_INS9_ISC_S2_Lm3ESD_lEESH_S2_Lm4ESD_lEEi.num_agpr, 0
	.set _ZN2at6native31max_unpooling3d_backward_kernelIlEEvPKT_lllN5torch10headeronly6detail27GenericPackedTensorAccessorINS7_14TensorAccessorIN3c108ArrayRefIlEElLm3ENS6_16DefaultPtrTraitsElEENS_6detail16IndexBoundsCheckILm4ElEElLm4ESD_lEENS8_INS9_ISC_S2_Lm3ESD_lEESH_S2_Lm4ESD_lEEi.numbered_sgpr, 27
	.set _ZN2at6native31max_unpooling3d_backward_kernelIlEEvPKT_lllN5torch10headeronly6detail27GenericPackedTensorAccessorINS7_14TensorAccessorIN3c108ArrayRefIlEElLm3ENS6_16DefaultPtrTraitsElEENS_6detail16IndexBoundsCheckILm4ElEElLm4ESD_lEENS8_INS9_ISC_S2_Lm3ESD_lEESH_S2_Lm4ESD_lEEi.num_named_barrier, 0
	.set _ZN2at6native31max_unpooling3d_backward_kernelIlEEvPKT_lllN5torch10headeronly6detail27GenericPackedTensorAccessorINS7_14TensorAccessorIN3c108ArrayRefIlEElLm3ENS6_16DefaultPtrTraitsElEENS_6detail16IndexBoundsCheckILm4ElEElLm4ESD_lEENS8_INS9_ISC_S2_Lm3ESD_lEESH_S2_Lm4ESD_lEEi.private_seg_size, 0
	.set _ZN2at6native31max_unpooling3d_backward_kernelIlEEvPKT_lllN5torch10headeronly6detail27GenericPackedTensorAccessorINS7_14TensorAccessorIN3c108ArrayRefIlEElLm3ENS6_16DefaultPtrTraitsElEENS_6detail16IndexBoundsCheckILm4ElEElLm4ESD_lEENS8_INS9_ISC_S2_Lm3ESD_lEESH_S2_Lm4ESD_lEEi.uses_vcc, 1
	.set _ZN2at6native31max_unpooling3d_backward_kernelIlEEvPKT_lllN5torch10headeronly6detail27GenericPackedTensorAccessorINS7_14TensorAccessorIN3c108ArrayRefIlEElLm3ENS6_16DefaultPtrTraitsElEENS_6detail16IndexBoundsCheckILm4ElEElLm4ESD_lEENS8_INS9_ISC_S2_Lm3ESD_lEESH_S2_Lm4ESD_lEEi.uses_flat_scratch, 0
	.set _ZN2at6native31max_unpooling3d_backward_kernelIlEEvPKT_lllN5torch10headeronly6detail27GenericPackedTensorAccessorINS7_14TensorAccessorIN3c108ArrayRefIlEElLm3ENS6_16DefaultPtrTraitsElEENS_6detail16IndexBoundsCheckILm4ElEElLm4ESD_lEENS8_INS9_ISC_S2_Lm3ESD_lEESH_S2_Lm4ESD_lEEi.has_dyn_sized_stack, 0
	.set _ZN2at6native31max_unpooling3d_backward_kernelIlEEvPKT_lllN5torch10headeronly6detail27GenericPackedTensorAccessorINS7_14TensorAccessorIN3c108ArrayRefIlEElLm3ENS6_16DefaultPtrTraitsElEENS_6detail16IndexBoundsCheckILm4ElEElLm4ESD_lEENS8_INS9_ISC_S2_Lm3ESD_lEESH_S2_Lm4ESD_lEEi.has_recursion, 0
	.set _ZN2at6native31max_unpooling3d_backward_kernelIlEEvPKT_lllN5torch10headeronly6detail27GenericPackedTensorAccessorINS7_14TensorAccessorIN3c108ArrayRefIlEElLm3ENS6_16DefaultPtrTraitsElEENS_6detail16IndexBoundsCheckILm4ElEElLm4ESD_lEENS8_INS9_ISC_S2_Lm3ESD_lEESH_S2_Lm4ESD_lEEi.has_indirect_call, 0
	.section	.AMDGPU.csdata,"",@progbits
; Kernel info:
; codeLenInByte = 1348
; TotalNumSgprs: 31
; NumVgprs: 12
; ScratchSize: 0
; MemoryBound: 0
; FloatMode: 240
; IeeeMode: 1
; LDSByteSize: 0 bytes/workgroup (compile time only)
; SGPRBlocks: 3
; VGPRBlocks: 2
; NumSGPRsForWavesPerEU: 31
; NumVGPRsForWavesPerEU: 12
; Occupancy: 10
; WaveLimiterHint : 1
; COMPUTE_PGM_RSRC2:SCRATCH_EN: 0
; COMPUTE_PGM_RSRC2:USER_SGPR: 6
; COMPUTE_PGM_RSRC2:TRAP_HANDLER: 0
; COMPUTE_PGM_RSRC2:TGID_X_EN: 1
; COMPUTE_PGM_RSRC2:TGID_Y_EN: 1
; COMPUTE_PGM_RSRC2:TGID_Z_EN: 1
; COMPUTE_PGM_RSRC2:TIDIG_COMP_CNT: 1
	.section	.text._ZN2at6native31max_unpooling3d_backward_kernelIsEEvPKT_lllN5torch10headeronly6detail27GenericPackedTensorAccessorINS7_14TensorAccessorIN3c108ArrayRefIlEElLm3ENS6_16DefaultPtrTraitsElEENS_6detail16IndexBoundsCheckILm4ElEElLm4ESD_lEENS8_INS9_ISC_S2_Lm3ESD_lEESH_S2_Lm4ESD_lEEi,"axG",@progbits,_ZN2at6native31max_unpooling3d_backward_kernelIsEEvPKT_lllN5torch10headeronly6detail27GenericPackedTensorAccessorINS7_14TensorAccessorIN3c108ArrayRefIlEElLm3ENS6_16DefaultPtrTraitsElEENS_6detail16IndexBoundsCheckILm4ElEElLm4ESD_lEENS8_INS9_ISC_S2_Lm3ESD_lEESH_S2_Lm4ESD_lEEi,comdat
	.protected	_ZN2at6native31max_unpooling3d_backward_kernelIsEEvPKT_lllN5torch10headeronly6detail27GenericPackedTensorAccessorINS7_14TensorAccessorIN3c108ArrayRefIlEElLm3ENS6_16DefaultPtrTraitsElEENS_6detail16IndexBoundsCheckILm4ElEElLm4ESD_lEENS8_INS9_ISC_S2_Lm3ESD_lEESH_S2_Lm4ESD_lEEi ; -- Begin function _ZN2at6native31max_unpooling3d_backward_kernelIsEEvPKT_lllN5torch10headeronly6detail27GenericPackedTensorAccessorINS7_14TensorAccessorIN3c108ArrayRefIlEElLm3ENS6_16DefaultPtrTraitsElEENS_6detail16IndexBoundsCheckILm4ElEElLm4ESD_lEENS8_INS9_ISC_S2_Lm3ESD_lEESH_S2_Lm4ESD_lEEi
	.globl	_ZN2at6native31max_unpooling3d_backward_kernelIsEEvPKT_lllN5torch10headeronly6detail27GenericPackedTensorAccessorINS7_14TensorAccessorIN3c108ArrayRefIlEElLm3ENS6_16DefaultPtrTraitsElEENS_6detail16IndexBoundsCheckILm4ElEElLm4ESD_lEENS8_INS9_ISC_S2_Lm3ESD_lEESH_S2_Lm4ESD_lEEi
	.p2align	8
	.type	_ZN2at6native31max_unpooling3d_backward_kernelIsEEvPKT_lllN5torch10headeronly6detail27GenericPackedTensorAccessorINS7_14TensorAccessorIN3c108ArrayRefIlEElLm3ENS6_16DefaultPtrTraitsElEENS_6detail16IndexBoundsCheckILm4ElEElLm4ESD_lEENS8_INS9_ISC_S2_Lm3ESD_lEESH_S2_Lm4ESD_lEEi,@function
_ZN2at6native31max_unpooling3d_backward_kernelIsEEvPKT_lllN5torch10headeronly6detail27GenericPackedTensorAccessorINS7_14TensorAccessorIN3c108ArrayRefIlEElLm3ENS6_16DefaultPtrTraitsElEENS_6detail16IndexBoundsCheckILm4ElEElLm4ESD_lEENS8_INS9_ISC_S2_Lm3ESD_lEESH_S2_Lm4ESD_lEEi: ; @_ZN2at6native31max_unpooling3d_backward_kernelIsEEvPKT_lllN5torch10headeronly6detail27GenericPackedTensorAccessorINS7_14TensorAccessorIN3c108ArrayRefIlEElLm3ENS6_16DefaultPtrTraitsElEENS_6detail16IndexBoundsCheckILm4ElEElLm4ESD_lEENS8_INS9_ISC_S2_Lm3ESD_lEESH_S2_Lm4ESD_lEEi
; %bb.0:
	s_load_dword s9, s[4:5], 0xb0
	s_load_dwordx2 s[0:1], s[4:5], 0x78
	s_load_dword s14, s[4:5], 0xc4
	s_add_u32 s2, s4, 0xb8
	s_addc_u32 s3, s5, 0
	s_waitcnt lgkmcnt(0)
	s_add_i32 s18, s9, s8
	s_mov_b32 s8, 0
	s_mov_b32 s9, s1
	s_cmp_lg_u64 s[8:9], 0
	s_cbranch_scc0 .LBB31_7
; %bb.1:
	s_ashr_i32 s10, s1, 31
	s_add_u32 s8, s0, s10
	s_mov_b32 s11, s10
	s_addc_u32 s9, s1, s10
	s_xor_b64 s[12:13], s[8:9], s[10:11]
	v_cvt_f32_u32_e32 v2, s12
	v_cvt_f32_u32_e32 v3, s13
	s_sub_u32 s1, 0, s12
	s_subb_u32 s15, 0, s13
	v_madmk_f32 v2, v3, 0x4f800000, v2
	v_rcp_f32_e32 v2, v2
	v_mul_f32_e32 v2, 0x5f7ffffc, v2
	v_mul_f32_e32 v3, 0x2f800000, v2
	v_trunc_f32_e32 v3, v3
	v_madmk_f32 v2, v3, 0xcf800000, v2
	v_cvt_u32_f32_e32 v3, v3
	v_cvt_u32_f32_e32 v2, v2
	v_readfirstlane_b32 s19, v3
	v_readfirstlane_b32 s16, v2
	s_mul_i32 s17, s1, s19
	s_mul_hi_u32 s21, s1, s16
	s_mul_i32 s20, s15, s16
	s_add_i32 s17, s21, s17
	s_add_i32 s17, s17, s20
	s_mul_i32 s22, s1, s16
	s_mul_i32 s21, s16, s17
	s_mul_hi_u32 s23, s16, s22
	s_mul_hi_u32 s20, s16, s17
	s_add_u32 s21, s23, s21
	s_addc_u32 s20, 0, s20
	s_mul_hi_u32 s24, s19, s22
	s_mul_i32 s22, s19, s22
	s_add_u32 s21, s21, s22
	s_mul_hi_u32 s23, s19, s17
	s_addc_u32 s20, s20, s24
	s_addc_u32 s21, s23, 0
	s_mul_i32 s17, s19, s17
	s_add_u32 s17, s20, s17
	s_addc_u32 s20, 0, s21
	s_add_u32 s21, s16, s17
	s_cselect_b64 s[16:17], -1, 0
	s_cmp_lg_u64 s[16:17], 0
	s_addc_u32 s19, s19, s20
	s_mul_i32 s16, s1, s19
	s_mul_hi_u32 s17, s1, s21
	s_add_i32 s16, s17, s16
	s_mul_i32 s15, s15, s21
	s_add_i32 s16, s16, s15
	s_mul_i32 s1, s1, s21
	s_mul_hi_u32 s17, s19, s1
	s_mul_i32 s20, s19, s1
	s_mul_i32 s23, s21, s16
	s_mul_hi_u32 s1, s21, s1
	s_mul_hi_u32 s22, s21, s16
	s_add_u32 s1, s1, s23
	s_addc_u32 s22, 0, s22
	s_add_u32 s1, s1, s20
	s_mul_hi_u32 s15, s19, s16
	s_addc_u32 s1, s22, s17
	s_addc_u32 s15, s15, 0
	s_mul_i32 s16, s19, s16
	s_add_u32 s1, s1, s16
	s_addc_u32 s15, 0, s15
	s_add_u32 s1, s21, s1
	s_cselect_b64 s[16:17], -1, 0
	s_cmp_lg_u64 s[16:17], 0
	s_addc_u32 s15, s19, s15
	s_add_u32 s16, s18, 0
	s_addc_u32 s17, 0, 0
	s_xor_b64 s[16:17], s[16:17], 0
	s_mul_i32 s20, s16, s15
	s_mul_hi_u32 s21, s16, s1
	s_mul_hi_u32 s19, s16, s15
	s_add_u32 s20, s21, s20
	s_addc_u32 s19, 0, s19
	s_mul_hi_u32 s22, s17, s1
	s_mul_i32 s1, s17, s1
	s_add_u32 s1, s20, s1
	s_mul_hi_u32 s21, s17, s15
	s_addc_u32 s1, s19, s22
	s_addc_u32 s19, s21, 0
	s_mul_i32 s15, s17, s15
	s_add_u32 s1, s1, s15
	s_addc_u32 s15, 0, s19
	s_mul_i32 s19, s12, s15
	s_mul_hi_u32 s20, s12, s1
	s_add_i32 s19, s20, s19
	s_mul_i32 s20, s13, s1
	s_add_i32 s19, s19, s20
	s_sub_i32 s22, s17, s19
	s_mul_i32 s20, s12, s1
	s_sub_u32 s16, s16, s20
	s_cselect_b64 s[20:21], -1, 0
	s_cmp_lg_u64 s[20:21], 0
	s_subb_u32 s24, s22, s13
	s_sub_u32 s25, s16, s12
	s_cselect_b64 s[22:23], -1, 0
	s_cmp_lg_u64 s[22:23], 0
	s_subb_u32 s22, s24, 0
	s_cmp_ge_u32 s22, s13
	s_cselect_b32 s23, -1, 0
	s_cmp_ge_u32 s25, s12
	s_cselect_b32 s24, -1, 0
	s_cmp_eq_u32 s22, s13
	s_cselect_b32 s22, s24, s23
	s_add_u32 s23, s1, 1
	s_addc_u32 s24, s15, 0
	s_add_u32 s25, s1, 2
	s_addc_u32 s26, s15, 0
	s_cmp_lg_u32 s22, 0
	s_cselect_b32 s22, s25, s23
	s_cselect_b32 s23, s26, s24
	s_cmp_lg_u64 s[20:21], 0
	s_subb_u32 s17, s17, s19
	s_cmp_ge_u32 s17, s13
	s_cselect_b32 s19, -1, 0
	s_cmp_ge_u32 s16, s12
	s_cselect_b32 s12, -1, 0
	s_cmp_eq_u32 s17, s13
	s_cselect_b32 s12, s12, s19
	s_cmp_lg_u32 s12, 0
	s_cselect_b32 s13, s23, s15
	s_cselect_b32 s12, s22, s1
	s_xor_b64 s[10:11], 0, s[10:11]
	s_xor_b64 s[12:13], s[12:13], s[10:11]
	s_sub_u32 s16, s12, s10
	s_subb_u32 s17, s13, s11
	s_lshr_b32 s1, s14, 16
	s_cbranch_execnz .LBB31_3
.LBB31_2:
	v_cvt_f32_u32_e32 v2, s0
	s_sub_i32 s8, 0, s0
	s_mov_b32 s17, 0
	v_rcp_iflag_f32_e32 v2, v2
	v_mul_f32_e32 v2, 0x4f7ffffe, v2
	v_cvt_u32_f32_e32 v2, v2
	v_readfirstlane_b32 s9, v2
	s_mul_i32 s8, s8, s9
	s_mul_hi_u32 s8, s9, s8
	s_add_i32 s9, s9, s8
	s_mul_hi_u32 s8, s18, s9
	s_mul_i32 s10, s8, s0
	s_sub_i32 s10, s18, s10
	s_add_i32 s9, s8, 1
	s_sub_i32 s11, s10, s0
	s_cmp_ge_u32 s10, s0
	s_cselect_b32 s8, s9, s8
	s_cselect_b32 s10, s11, s10
	s_add_i32 s9, s8, 1
	s_cmp_ge_u32 s10, s0
	s_cselect_b32 s16, s9, s8
.LBB31_3:
	s_load_dwordx2 s[8:9], s[4:5], 0x80
	s_and_b32 s1, 0xffff, s1
	s_mul_i32 s7, s7, s1
	v_add_u32_e32 v1, s7, v1
	v_ashrrev_i32_e32 v2, 31, v1
	s_waitcnt lgkmcnt(0)
	v_cmp_gt_i64_e32 vcc, s[8:9], v[1:2]
	s_and_saveexec_b64 s[8:9], vcc
	s_cbranch_execz .LBB31_6
; %bb.4:
	s_load_dword s1, s[2:3], 0xc
	s_load_dwordx2 s[8:9], s[4:5], 0x88
	s_waitcnt lgkmcnt(0)
	s_and_b32 s1, s1, 0xffff
	s_mul_i32 s6, s6, s1
	v_add_u32_e32 v3, s6, v0
	v_ashrrev_i32_e32 v4, 31, v3
	v_cmp_gt_i64_e32 vcc, s[8:9], v[3:4]
	s_and_b64 exec, exec, vcc
	s_cbranch_execz .LBB31_6
; %bb.5:
	s_load_dwordx8 s[8:15], s[4:5], 0x48
	s_mul_i32 s6, s16, s0
	s_load_dwordx2 s[2:3], s[4:5], 0x20
	s_bfe_i64 s[0:1], s[16:17], 0x200000
	s_sub_i32 s17, s18, s6
	s_waitcnt lgkmcnt(0)
	s_mul_i32 s0, s8, s1
	s_mul_hi_u32 s6, s8, s16
	s_add_i32 s0, s6, s0
	s_mul_i32 s6, s9, s16
	s_add_i32 s7, s0, s6
	s_mul_i32 s6, s8, s16
	s_lshl_b64 s[6:7], s[6:7], 3
	s_add_u32 s0, s2, s6
	s_addc_u32 s8, s3, s7
	s_ashr_i32 s18, s17, 31
	s_mul_i32 s2, s10, s18
	s_mul_hi_u32 s3, s10, s17
	s_add_i32 s2, s3, s2
	s_mul_i32 s3, s11, s17
	s_add_i32 s3, s2, s3
	s_mul_i32 s2, s10, s17
	v_mul_lo_u32 v0, s13, v1
	v_mul_lo_u32 v7, s12, v2
	v_mad_u64_u32 v[5:6], s[6:7], s12, v1, 0
	s_lshl_b64 s[2:3], s[2:3], 3
	s_add_u32 s0, s0, s2
	s_addc_u32 s2, s8, s3
	v_add3_u32 v6, v6, v7, v0
	v_mov_b32_e32 v0, s2
	v_mul_lo_u32 v9, s15, v3
	v_mul_lo_u32 v10, s14, v4
	v_mad_u64_u32 v[7:8], s[2:3], s14, v3, 0
	v_lshlrev_b64 v[5:6], 3, v[5:6]
	s_load_dwordx8 s[8:15], s[4:5], 0x0
	v_add_co_u32_e32 v11, vcc, s0, v5
	v_add3_u32 v8, v8, v10, v9
	v_addc_co_u32_e32 v0, vcc, v0, v6, vcc
	v_lshlrev_b64 v[5:6], 3, v[7:8]
	s_waitcnt lgkmcnt(0)
	s_mul_i32 s0, s12, s11
	v_add_co_u32_e32 v5, vcc, v11, v5
	v_addc_co_u32_e32 v6, vcc, v0, v6, vcc
	global_load_dwordx2 v[5:6], v[5:6], off
	s_mul_hi_u32 s3, s12, s10
	s_mul_i32 s6, s13, s10
	s_mul_i32 s2, s12, s10
	s_add_i32 s0, s3, s0
	s_mul_i32 s7, s2, s15
	s_mul_hi_u32 s10, s2, s14
	s_add_i32 s0, s0, s6
	s_mul_i32 s2, s2, s14
	s_add_i32 s3, s10, s7
	s_mul_i32 s0, s0, s14
	s_mul_i32 s11, s2, s1
	s_mul_hi_u32 s12, s2, s16
	s_add_i32 s0, s3, s0
	s_add_i32 s7, s12, s11
	s_mul_i32 s0, s0, s16
	s_mul_i32 s2, s2, s16
	s_add_i32 s3, s7, s0
	s_lshl_b64 s[2:3], s[2:3], 1
	s_add_u32 s0, s8, s2
	s_addc_u32 s2, s9, s3
	v_mov_b32_e32 v0, s2
	s_waitcnt vmcnt(0)
	v_lshlrev_b64 v[5:6], 1, v[5:6]
	v_add_co_u32_e32 v5, vcc, s0, v5
	v_addc_co_u32_e32 v6, vcc, v0, v6, vcc
	global_load_ushort v5, v[5:6], off
	s_load_dwordx8 s[8:15], s[4:5], 0x90
	s_load_dwordx2 s[2:3], s[4:5], 0x68
	s_waitcnt lgkmcnt(0)
	s_mul_i32 s0, s8, s1
	s_mul_hi_u32 s1, s8, s16
	s_add_i32 s0, s1, s0
	s_mul_i32 s1, s9, s16
	s_add_i32 s1, s0, s1
	s_mul_i32 s0, s8, s16
	s_lshl_b64 s[0:1], s[0:1], 1
	s_add_u32 s4, s2, s0
	s_addc_u32 s5, s3, s1
	s_mul_i32 s0, s10, s18
	s_mul_hi_u32 s1, s10, s17
	s_add_i32 s0, s1, s0
	s_mul_i32 s1, s11, s17
	s_add_i32 s1, s0, s1
	s_mul_i32 s0, s10, s17
	v_mul_lo_u32 v6, s13, v1
	v_mul_lo_u32 v2, s12, v2
	v_mad_u64_u32 v[0:1], s[2:3], s12, v1, 0
	s_lshl_b64 s[0:1], s[0:1], 1
	s_add_u32 s2, s4, s0
	s_addc_u32 s0, s5, s1
	v_add3_u32 v1, v1, v2, v6
	v_mov_b32_e32 v6, s0
	v_mul_lo_u32 v7, s15, v3
	v_mul_lo_u32 v4, s14, v4
	v_mad_u64_u32 v[2:3], s[0:1], s14, v3, 0
	v_lshlrev_b64 v[0:1], 1, v[0:1]
	v_add_co_u32_e32 v8, vcc, s2, v0
	v_add3_u32 v3, v3, v4, v7
	v_addc_co_u32_e32 v6, vcc, v6, v1, vcc
	v_lshlrev_b64 v[0:1], 1, v[2:3]
	v_add_co_u32_e32 v0, vcc, v8, v0
	v_addc_co_u32_e32 v1, vcc, v6, v1, vcc
	s_waitcnt vmcnt(0)
	global_store_short v[0:1], v5, off
.LBB31_6:
	s_endpgm
.LBB31_7:
                                        ; implicit-def: $sgpr16_sgpr17
	s_lshr_b32 s1, s14, 16
	s_branch .LBB31_2
	.section	.rodata,"a",@progbits
	.p2align	6, 0x0
	.amdhsa_kernel _ZN2at6native31max_unpooling3d_backward_kernelIsEEvPKT_lllN5torch10headeronly6detail27GenericPackedTensorAccessorINS7_14TensorAccessorIN3c108ArrayRefIlEElLm3ENS6_16DefaultPtrTraitsElEENS_6detail16IndexBoundsCheckILm4ElEElLm4ESD_lEENS8_INS9_ISC_S2_Lm3ESD_lEESH_S2_Lm4ESD_lEEi
		.amdhsa_group_segment_fixed_size 0
		.amdhsa_private_segment_fixed_size 0
		.amdhsa_kernarg_size 440
		.amdhsa_user_sgpr_count 6
		.amdhsa_user_sgpr_private_segment_buffer 1
		.amdhsa_user_sgpr_dispatch_ptr 0
		.amdhsa_user_sgpr_queue_ptr 0
		.amdhsa_user_sgpr_kernarg_segment_ptr 1
		.amdhsa_user_sgpr_dispatch_id 0
		.amdhsa_user_sgpr_flat_scratch_init 0
		.amdhsa_user_sgpr_private_segment_size 0
		.amdhsa_uses_dynamic_stack 0
		.amdhsa_system_sgpr_private_segment_wavefront_offset 0
		.amdhsa_system_sgpr_workgroup_id_x 1
		.amdhsa_system_sgpr_workgroup_id_y 1
		.amdhsa_system_sgpr_workgroup_id_z 1
		.amdhsa_system_sgpr_workgroup_info 0
		.amdhsa_system_vgpr_workitem_id 1
		.amdhsa_next_free_vgpr 12
		.amdhsa_next_free_sgpr 27
		.amdhsa_reserve_vcc 1
		.amdhsa_reserve_flat_scratch 0
		.amdhsa_float_round_mode_32 0
		.amdhsa_float_round_mode_16_64 0
		.amdhsa_float_denorm_mode_32 3
		.amdhsa_float_denorm_mode_16_64 3
		.amdhsa_dx10_clamp 1
		.amdhsa_ieee_mode 1
		.amdhsa_fp16_overflow 0
		.amdhsa_exception_fp_ieee_invalid_op 0
		.amdhsa_exception_fp_denorm_src 0
		.amdhsa_exception_fp_ieee_div_zero 0
		.amdhsa_exception_fp_ieee_overflow 0
		.amdhsa_exception_fp_ieee_underflow 0
		.amdhsa_exception_fp_ieee_inexact 0
		.amdhsa_exception_int_div_zero 0
	.end_amdhsa_kernel
	.section	.text._ZN2at6native31max_unpooling3d_backward_kernelIsEEvPKT_lllN5torch10headeronly6detail27GenericPackedTensorAccessorINS7_14TensorAccessorIN3c108ArrayRefIlEElLm3ENS6_16DefaultPtrTraitsElEENS_6detail16IndexBoundsCheckILm4ElEElLm4ESD_lEENS8_INS9_ISC_S2_Lm3ESD_lEESH_S2_Lm4ESD_lEEi,"axG",@progbits,_ZN2at6native31max_unpooling3d_backward_kernelIsEEvPKT_lllN5torch10headeronly6detail27GenericPackedTensorAccessorINS7_14TensorAccessorIN3c108ArrayRefIlEElLm3ENS6_16DefaultPtrTraitsElEENS_6detail16IndexBoundsCheckILm4ElEElLm4ESD_lEENS8_INS9_ISC_S2_Lm3ESD_lEESH_S2_Lm4ESD_lEEi,comdat
.Lfunc_end31:
	.size	_ZN2at6native31max_unpooling3d_backward_kernelIsEEvPKT_lllN5torch10headeronly6detail27GenericPackedTensorAccessorINS7_14TensorAccessorIN3c108ArrayRefIlEElLm3ENS6_16DefaultPtrTraitsElEENS_6detail16IndexBoundsCheckILm4ElEElLm4ESD_lEENS8_INS9_ISC_S2_Lm3ESD_lEESH_S2_Lm4ESD_lEEi, .Lfunc_end31-_ZN2at6native31max_unpooling3d_backward_kernelIsEEvPKT_lllN5torch10headeronly6detail27GenericPackedTensorAccessorINS7_14TensorAccessorIN3c108ArrayRefIlEElLm3ENS6_16DefaultPtrTraitsElEENS_6detail16IndexBoundsCheckILm4ElEElLm4ESD_lEENS8_INS9_ISC_S2_Lm3ESD_lEESH_S2_Lm4ESD_lEEi
                                        ; -- End function
	.set _ZN2at6native31max_unpooling3d_backward_kernelIsEEvPKT_lllN5torch10headeronly6detail27GenericPackedTensorAccessorINS7_14TensorAccessorIN3c108ArrayRefIlEElLm3ENS6_16DefaultPtrTraitsElEENS_6detail16IndexBoundsCheckILm4ElEElLm4ESD_lEENS8_INS9_ISC_S2_Lm3ESD_lEESH_S2_Lm4ESD_lEEi.num_vgpr, 12
	.set _ZN2at6native31max_unpooling3d_backward_kernelIsEEvPKT_lllN5torch10headeronly6detail27GenericPackedTensorAccessorINS7_14TensorAccessorIN3c108ArrayRefIlEElLm3ENS6_16DefaultPtrTraitsElEENS_6detail16IndexBoundsCheckILm4ElEElLm4ESD_lEENS8_INS9_ISC_S2_Lm3ESD_lEESH_S2_Lm4ESD_lEEi.num_agpr, 0
	.set _ZN2at6native31max_unpooling3d_backward_kernelIsEEvPKT_lllN5torch10headeronly6detail27GenericPackedTensorAccessorINS7_14TensorAccessorIN3c108ArrayRefIlEElLm3ENS6_16DefaultPtrTraitsElEENS_6detail16IndexBoundsCheckILm4ElEElLm4ESD_lEENS8_INS9_ISC_S2_Lm3ESD_lEESH_S2_Lm4ESD_lEEi.numbered_sgpr, 27
	.set _ZN2at6native31max_unpooling3d_backward_kernelIsEEvPKT_lllN5torch10headeronly6detail27GenericPackedTensorAccessorINS7_14TensorAccessorIN3c108ArrayRefIlEElLm3ENS6_16DefaultPtrTraitsElEENS_6detail16IndexBoundsCheckILm4ElEElLm4ESD_lEENS8_INS9_ISC_S2_Lm3ESD_lEESH_S2_Lm4ESD_lEEi.num_named_barrier, 0
	.set _ZN2at6native31max_unpooling3d_backward_kernelIsEEvPKT_lllN5torch10headeronly6detail27GenericPackedTensorAccessorINS7_14TensorAccessorIN3c108ArrayRefIlEElLm3ENS6_16DefaultPtrTraitsElEENS_6detail16IndexBoundsCheckILm4ElEElLm4ESD_lEENS8_INS9_ISC_S2_Lm3ESD_lEESH_S2_Lm4ESD_lEEi.private_seg_size, 0
	.set _ZN2at6native31max_unpooling3d_backward_kernelIsEEvPKT_lllN5torch10headeronly6detail27GenericPackedTensorAccessorINS7_14TensorAccessorIN3c108ArrayRefIlEElLm3ENS6_16DefaultPtrTraitsElEENS_6detail16IndexBoundsCheckILm4ElEElLm4ESD_lEENS8_INS9_ISC_S2_Lm3ESD_lEESH_S2_Lm4ESD_lEEi.uses_vcc, 1
	.set _ZN2at6native31max_unpooling3d_backward_kernelIsEEvPKT_lllN5torch10headeronly6detail27GenericPackedTensorAccessorINS7_14TensorAccessorIN3c108ArrayRefIlEElLm3ENS6_16DefaultPtrTraitsElEENS_6detail16IndexBoundsCheckILm4ElEElLm4ESD_lEENS8_INS9_ISC_S2_Lm3ESD_lEESH_S2_Lm4ESD_lEEi.uses_flat_scratch, 0
	.set _ZN2at6native31max_unpooling3d_backward_kernelIsEEvPKT_lllN5torch10headeronly6detail27GenericPackedTensorAccessorINS7_14TensorAccessorIN3c108ArrayRefIlEElLm3ENS6_16DefaultPtrTraitsElEENS_6detail16IndexBoundsCheckILm4ElEElLm4ESD_lEENS8_INS9_ISC_S2_Lm3ESD_lEESH_S2_Lm4ESD_lEEi.has_dyn_sized_stack, 0
	.set _ZN2at6native31max_unpooling3d_backward_kernelIsEEvPKT_lllN5torch10headeronly6detail27GenericPackedTensorAccessorINS7_14TensorAccessorIN3c108ArrayRefIlEElLm3ENS6_16DefaultPtrTraitsElEENS_6detail16IndexBoundsCheckILm4ElEElLm4ESD_lEENS8_INS9_ISC_S2_Lm3ESD_lEESH_S2_Lm4ESD_lEEi.has_recursion, 0
	.set _ZN2at6native31max_unpooling3d_backward_kernelIsEEvPKT_lllN5torch10headeronly6detail27GenericPackedTensorAccessorINS7_14TensorAccessorIN3c108ArrayRefIlEElLm3ENS6_16DefaultPtrTraitsElEENS_6detail16IndexBoundsCheckILm4ElEElLm4ESD_lEENS8_INS9_ISC_S2_Lm3ESD_lEESH_S2_Lm4ESD_lEEi.has_indirect_call, 0
	.section	.AMDGPU.csdata,"",@progbits
; Kernel info:
; codeLenInByte = 1348
; TotalNumSgprs: 31
; NumVgprs: 12
; ScratchSize: 0
; MemoryBound: 0
; FloatMode: 240
; IeeeMode: 1
; LDSByteSize: 0 bytes/workgroup (compile time only)
; SGPRBlocks: 3
; VGPRBlocks: 2
; NumSGPRsForWavesPerEU: 31
; NumVGPRsForWavesPerEU: 12
; Occupancy: 10
; WaveLimiterHint : 1
; COMPUTE_PGM_RSRC2:SCRATCH_EN: 0
; COMPUTE_PGM_RSRC2:USER_SGPR: 6
; COMPUTE_PGM_RSRC2:TRAP_HANDLER: 0
; COMPUTE_PGM_RSRC2:TGID_X_EN: 1
; COMPUTE_PGM_RSRC2:TGID_Y_EN: 1
; COMPUTE_PGM_RSRC2:TGID_Z_EN: 1
; COMPUTE_PGM_RSRC2:TIDIG_COMP_CNT: 1
	.section	.text._ZN2at6native31max_unpooling3d_backward_kernelIdEEvPKT_lllN5torch10headeronly6detail27GenericPackedTensorAccessorINS7_14TensorAccessorIN3c108ArrayRefIlEElLm3ENS6_16DefaultPtrTraitsElEENS_6detail16IndexBoundsCheckILm4ElEElLm4ESD_lEENS8_INS9_ISC_S2_Lm3ESD_lEESH_S2_Lm4ESD_lEEi,"axG",@progbits,_ZN2at6native31max_unpooling3d_backward_kernelIdEEvPKT_lllN5torch10headeronly6detail27GenericPackedTensorAccessorINS7_14TensorAccessorIN3c108ArrayRefIlEElLm3ENS6_16DefaultPtrTraitsElEENS_6detail16IndexBoundsCheckILm4ElEElLm4ESD_lEENS8_INS9_ISC_S2_Lm3ESD_lEESH_S2_Lm4ESD_lEEi,comdat
	.protected	_ZN2at6native31max_unpooling3d_backward_kernelIdEEvPKT_lllN5torch10headeronly6detail27GenericPackedTensorAccessorINS7_14TensorAccessorIN3c108ArrayRefIlEElLm3ENS6_16DefaultPtrTraitsElEENS_6detail16IndexBoundsCheckILm4ElEElLm4ESD_lEENS8_INS9_ISC_S2_Lm3ESD_lEESH_S2_Lm4ESD_lEEi ; -- Begin function _ZN2at6native31max_unpooling3d_backward_kernelIdEEvPKT_lllN5torch10headeronly6detail27GenericPackedTensorAccessorINS7_14TensorAccessorIN3c108ArrayRefIlEElLm3ENS6_16DefaultPtrTraitsElEENS_6detail16IndexBoundsCheckILm4ElEElLm4ESD_lEENS8_INS9_ISC_S2_Lm3ESD_lEESH_S2_Lm4ESD_lEEi
	.globl	_ZN2at6native31max_unpooling3d_backward_kernelIdEEvPKT_lllN5torch10headeronly6detail27GenericPackedTensorAccessorINS7_14TensorAccessorIN3c108ArrayRefIlEElLm3ENS6_16DefaultPtrTraitsElEENS_6detail16IndexBoundsCheckILm4ElEElLm4ESD_lEENS8_INS9_ISC_S2_Lm3ESD_lEESH_S2_Lm4ESD_lEEi
	.p2align	8
	.type	_ZN2at6native31max_unpooling3d_backward_kernelIdEEvPKT_lllN5torch10headeronly6detail27GenericPackedTensorAccessorINS7_14TensorAccessorIN3c108ArrayRefIlEElLm3ENS6_16DefaultPtrTraitsElEENS_6detail16IndexBoundsCheckILm4ElEElLm4ESD_lEENS8_INS9_ISC_S2_Lm3ESD_lEESH_S2_Lm4ESD_lEEi,@function
_ZN2at6native31max_unpooling3d_backward_kernelIdEEvPKT_lllN5torch10headeronly6detail27GenericPackedTensorAccessorINS7_14TensorAccessorIN3c108ArrayRefIlEElLm3ENS6_16DefaultPtrTraitsElEENS_6detail16IndexBoundsCheckILm4ElEElLm4ESD_lEENS8_INS9_ISC_S2_Lm3ESD_lEESH_S2_Lm4ESD_lEEi: ; @_ZN2at6native31max_unpooling3d_backward_kernelIdEEvPKT_lllN5torch10headeronly6detail27GenericPackedTensorAccessorINS7_14TensorAccessorIN3c108ArrayRefIlEElLm3ENS6_16DefaultPtrTraitsElEENS_6detail16IndexBoundsCheckILm4ElEElLm4ESD_lEENS8_INS9_ISC_S2_Lm3ESD_lEESH_S2_Lm4ESD_lEEi
; %bb.0:
	s_load_dword s9, s[4:5], 0xb0
	s_load_dwordx2 s[0:1], s[4:5], 0x78
	s_load_dword s14, s[4:5], 0xc4
	s_add_u32 s2, s4, 0xb8
	s_addc_u32 s3, s5, 0
	s_waitcnt lgkmcnt(0)
	s_add_i32 s18, s9, s8
	s_mov_b32 s8, 0
	s_mov_b32 s9, s1
	s_cmp_lg_u64 s[8:9], 0
	s_cbranch_scc0 .LBB32_7
; %bb.1:
	s_ashr_i32 s10, s1, 31
	s_add_u32 s8, s0, s10
	s_mov_b32 s11, s10
	s_addc_u32 s9, s1, s10
	s_xor_b64 s[12:13], s[8:9], s[10:11]
	v_cvt_f32_u32_e32 v2, s12
	v_cvt_f32_u32_e32 v3, s13
	s_sub_u32 s1, 0, s12
	s_subb_u32 s15, 0, s13
	v_madmk_f32 v2, v3, 0x4f800000, v2
	v_rcp_f32_e32 v2, v2
	v_mul_f32_e32 v2, 0x5f7ffffc, v2
	v_mul_f32_e32 v3, 0x2f800000, v2
	v_trunc_f32_e32 v3, v3
	v_madmk_f32 v2, v3, 0xcf800000, v2
	v_cvt_u32_f32_e32 v3, v3
	v_cvt_u32_f32_e32 v2, v2
	v_readfirstlane_b32 s19, v3
	v_readfirstlane_b32 s16, v2
	s_mul_i32 s17, s1, s19
	s_mul_hi_u32 s21, s1, s16
	s_mul_i32 s20, s15, s16
	s_add_i32 s17, s21, s17
	s_add_i32 s17, s17, s20
	s_mul_i32 s22, s1, s16
	s_mul_i32 s21, s16, s17
	s_mul_hi_u32 s23, s16, s22
	s_mul_hi_u32 s20, s16, s17
	s_add_u32 s21, s23, s21
	s_addc_u32 s20, 0, s20
	s_mul_hi_u32 s24, s19, s22
	s_mul_i32 s22, s19, s22
	s_add_u32 s21, s21, s22
	s_mul_hi_u32 s23, s19, s17
	s_addc_u32 s20, s20, s24
	s_addc_u32 s21, s23, 0
	s_mul_i32 s17, s19, s17
	s_add_u32 s17, s20, s17
	s_addc_u32 s20, 0, s21
	s_add_u32 s21, s16, s17
	s_cselect_b64 s[16:17], -1, 0
	s_cmp_lg_u64 s[16:17], 0
	s_addc_u32 s19, s19, s20
	s_mul_i32 s16, s1, s19
	s_mul_hi_u32 s17, s1, s21
	s_add_i32 s16, s17, s16
	s_mul_i32 s15, s15, s21
	s_add_i32 s16, s16, s15
	s_mul_i32 s1, s1, s21
	s_mul_hi_u32 s17, s19, s1
	s_mul_i32 s20, s19, s1
	s_mul_i32 s23, s21, s16
	s_mul_hi_u32 s1, s21, s1
	s_mul_hi_u32 s22, s21, s16
	s_add_u32 s1, s1, s23
	s_addc_u32 s22, 0, s22
	s_add_u32 s1, s1, s20
	s_mul_hi_u32 s15, s19, s16
	s_addc_u32 s1, s22, s17
	s_addc_u32 s15, s15, 0
	s_mul_i32 s16, s19, s16
	s_add_u32 s1, s1, s16
	s_addc_u32 s15, 0, s15
	s_add_u32 s1, s21, s1
	s_cselect_b64 s[16:17], -1, 0
	s_cmp_lg_u64 s[16:17], 0
	s_addc_u32 s15, s19, s15
	s_add_u32 s16, s18, 0
	s_addc_u32 s17, 0, 0
	s_xor_b64 s[16:17], s[16:17], 0
	s_mul_i32 s20, s16, s15
	s_mul_hi_u32 s21, s16, s1
	s_mul_hi_u32 s19, s16, s15
	s_add_u32 s20, s21, s20
	s_addc_u32 s19, 0, s19
	s_mul_hi_u32 s22, s17, s1
	s_mul_i32 s1, s17, s1
	s_add_u32 s1, s20, s1
	s_mul_hi_u32 s21, s17, s15
	s_addc_u32 s1, s19, s22
	s_addc_u32 s19, s21, 0
	s_mul_i32 s15, s17, s15
	s_add_u32 s1, s1, s15
	s_addc_u32 s15, 0, s19
	s_mul_i32 s19, s12, s15
	s_mul_hi_u32 s20, s12, s1
	s_add_i32 s19, s20, s19
	s_mul_i32 s20, s13, s1
	s_add_i32 s19, s19, s20
	s_sub_i32 s22, s17, s19
	s_mul_i32 s20, s12, s1
	s_sub_u32 s16, s16, s20
	s_cselect_b64 s[20:21], -1, 0
	s_cmp_lg_u64 s[20:21], 0
	s_subb_u32 s24, s22, s13
	s_sub_u32 s25, s16, s12
	s_cselect_b64 s[22:23], -1, 0
	s_cmp_lg_u64 s[22:23], 0
	s_subb_u32 s22, s24, 0
	s_cmp_ge_u32 s22, s13
	s_cselect_b32 s23, -1, 0
	s_cmp_ge_u32 s25, s12
	s_cselect_b32 s24, -1, 0
	s_cmp_eq_u32 s22, s13
	s_cselect_b32 s22, s24, s23
	s_add_u32 s23, s1, 1
	s_addc_u32 s24, s15, 0
	s_add_u32 s25, s1, 2
	s_addc_u32 s26, s15, 0
	s_cmp_lg_u32 s22, 0
	s_cselect_b32 s22, s25, s23
	s_cselect_b32 s23, s26, s24
	s_cmp_lg_u64 s[20:21], 0
	s_subb_u32 s17, s17, s19
	s_cmp_ge_u32 s17, s13
	s_cselect_b32 s19, -1, 0
	s_cmp_ge_u32 s16, s12
	s_cselect_b32 s12, -1, 0
	s_cmp_eq_u32 s17, s13
	s_cselect_b32 s12, s12, s19
	s_cmp_lg_u32 s12, 0
	s_cselect_b32 s13, s23, s15
	s_cselect_b32 s12, s22, s1
	s_xor_b64 s[10:11], 0, s[10:11]
	s_xor_b64 s[12:13], s[12:13], s[10:11]
	s_sub_u32 s16, s12, s10
	s_subb_u32 s17, s13, s11
	s_lshr_b32 s1, s14, 16
	s_cbranch_execnz .LBB32_3
.LBB32_2:
	v_cvt_f32_u32_e32 v2, s0
	s_sub_i32 s8, 0, s0
	s_mov_b32 s17, 0
	v_rcp_iflag_f32_e32 v2, v2
	v_mul_f32_e32 v2, 0x4f7ffffe, v2
	v_cvt_u32_f32_e32 v2, v2
	v_readfirstlane_b32 s9, v2
	s_mul_i32 s8, s8, s9
	s_mul_hi_u32 s8, s9, s8
	s_add_i32 s9, s9, s8
	s_mul_hi_u32 s8, s18, s9
	s_mul_i32 s10, s8, s0
	s_sub_i32 s10, s18, s10
	s_add_i32 s9, s8, 1
	s_sub_i32 s11, s10, s0
	s_cmp_ge_u32 s10, s0
	s_cselect_b32 s8, s9, s8
	s_cselect_b32 s10, s11, s10
	s_add_i32 s9, s8, 1
	s_cmp_ge_u32 s10, s0
	s_cselect_b32 s16, s9, s8
.LBB32_3:
	s_load_dwordx2 s[8:9], s[4:5], 0x80
	s_and_b32 s1, 0xffff, s1
	s_mul_i32 s7, s7, s1
	v_add_u32_e32 v1, s7, v1
	v_ashrrev_i32_e32 v2, 31, v1
	s_waitcnt lgkmcnt(0)
	v_cmp_gt_i64_e32 vcc, s[8:9], v[1:2]
	s_and_saveexec_b64 s[8:9], vcc
	s_cbranch_execz .LBB32_6
; %bb.4:
	s_load_dword s1, s[2:3], 0xc
	s_load_dwordx2 s[8:9], s[4:5], 0x88
	s_waitcnt lgkmcnt(0)
	s_and_b32 s1, s1, 0xffff
	s_mul_i32 s6, s6, s1
	v_add_u32_e32 v3, s6, v0
	v_ashrrev_i32_e32 v4, 31, v3
	v_cmp_gt_i64_e32 vcc, s[8:9], v[3:4]
	s_and_b64 exec, exec, vcc
	s_cbranch_execz .LBB32_6
; %bb.5:
	s_load_dwordx8 s[8:15], s[4:5], 0x48
	s_mul_i32 s6, s16, s0
	s_load_dwordx2 s[2:3], s[4:5], 0x20
	s_bfe_i64 s[0:1], s[16:17], 0x200000
	s_sub_i32 s17, s18, s6
	s_waitcnt lgkmcnt(0)
	s_mul_i32 s0, s8, s1
	s_mul_hi_u32 s6, s8, s16
	s_add_i32 s0, s6, s0
	s_mul_i32 s6, s9, s16
	s_add_i32 s7, s0, s6
	s_mul_i32 s6, s8, s16
	s_lshl_b64 s[6:7], s[6:7], 3
	s_add_u32 s0, s2, s6
	s_addc_u32 s8, s3, s7
	s_ashr_i32 s18, s17, 31
	s_mul_i32 s2, s10, s18
	s_mul_hi_u32 s3, s10, s17
	s_add_i32 s2, s3, s2
	s_mul_i32 s3, s11, s17
	s_add_i32 s3, s2, s3
	s_mul_i32 s2, s10, s17
	v_mul_lo_u32 v0, s13, v1
	v_mul_lo_u32 v7, s12, v2
	v_mad_u64_u32 v[5:6], s[6:7], s12, v1, 0
	s_lshl_b64 s[2:3], s[2:3], 3
	s_add_u32 s0, s0, s2
	s_addc_u32 s2, s8, s3
	v_add3_u32 v6, v6, v7, v0
	v_mov_b32_e32 v0, s2
	v_mul_lo_u32 v9, s15, v3
	v_mul_lo_u32 v10, s14, v4
	v_mad_u64_u32 v[7:8], s[2:3], s14, v3, 0
	v_lshlrev_b64 v[5:6], 3, v[5:6]
	s_load_dwordx8 s[8:15], s[4:5], 0x0
	v_add_co_u32_e32 v11, vcc, s0, v5
	v_add3_u32 v8, v8, v10, v9
	v_addc_co_u32_e32 v0, vcc, v0, v6, vcc
	v_lshlrev_b64 v[5:6], 3, v[7:8]
	s_waitcnt lgkmcnt(0)
	s_mul_i32 s0, s12, s11
	v_add_co_u32_e32 v5, vcc, v11, v5
	v_addc_co_u32_e32 v6, vcc, v0, v6, vcc
	global_load_dwordx2 v[5:6], v[5:6], off
	s_mul_hi_u32 s3, s12, s10
	s_mul_i32 s6, s13, s10
	s_mul_i32 s2, s12, s10
	s_add_i32 s0, s3, s0
	s_mul_i32 s7, s2, s15
	s_mul_hi_u32 s10, s2, s14
	s_add_i32 s0, s0, s6
	s_mul_i32 s2, s2, s14
	s_add_i32 s3, s10, s7
	s_mul_i32 s0, s0, s14
	s_mul_i32 s11, s2, s1
	s_mul_hi_u32 s12, s2, s16
	s_add_i32 s0, s3, s0
	s_add_i32 s7, s12, s11
	s_mul_i32 s0, s0, s16
	s_mul_i32 s2, s2, s16
	s_add_i32 s3, s7, s0
	s_lshl_b64 s[2:3], s[2:3], 3
	s_add_u32 s0, s8, s2
	s_addc_u32 s2, s9, s3
	v_mov_b32_e32 v0, s2
	s_waitcnt vmcnt(0)
	v_lshlrev_b64 v[5:6], 3, v[5:6]
	v_add_co_u32_e32 v5, vcc, s0, v5
	v_addc_co_u32_e32 v6, vcc, v0, v6, vcc
	global_load_dwordx2 v[5:6], v[5:6], off
	s_load_dwordx8 s[8:15], s[4:5], 0x90
	s_load_dwordx2 s[2:3], s[4:5], 0x68
	s_waitcnt lgkmcnt(0)
	s_mul_i32 s0, s8, s1
	s_mul_hi_u32 s1, s8, s16
	s_add_i32 s0, s1, s0
	s_mul_i32 s1, s9, s16
	s_add_i32 s1, s0, s1
	s_mul_i32 s0, s8, s16
	s_lshl_b64 s[0:1], s[0:1], 3
	s_add_u32 s4, s2, s0
	s_addc_u32 s5, s3, s1
	s_mul_i32 s0, s10, s18
	s_mul_hi_u32 s1, s10, s17
	s_add_i32 s0, s1, s0
	s_mul_i32 s1, s11, s17
	s_add_i32 s1, s0, s1
	s_mul_i32 s0, s10, s17
	v_mul_lo_u32 v7, s13, v1
	v_mul_lo_u32 v2, s12, v2
	v_mad_u64_u32 v[0:1], s[2:3], s12, v1, 0
	s_lshl_b64 s[0:1], s[0:1], 3
	s_add_u32 s2, s4, s0
	s_addc_u32 s0, s5, s1
	v_add3_u32 v1, v1, v2, v7
	v_mov_b32_e32 v7, s0
	v_mul_lo_u32 v8, s15, v3
	v_mul_lo_u32 v4, s14, v4
	v_mad_u64_u32 v[2:3], s[0:1], s14, v3, 0
	v_lshlrev_b64 v[0:1], 3, v[0:1]
	v_add_co_u32_e32 v9, vcc, s2, v0
	v_add3_u32 v3, v3, v4, v8
	v_addc_co_u32_e32 v7, vcc, v7, v1, vcc
	v_lshlrev_b64 v[0:1], 3, v[2:3]
	v_add_co_u32_e32 v0, vcc, v9, v0
	v_addc_co_u32_e32 v1, vcc, v7, v1, vcc
	s_waitcnt vmcnt(0)
	global_store_dwordx2 v[0:1], v[5:6], off
.LBB32_6:
	s_endpgm
.LBB32_7:
                                        ; implicit-def: $sgpr16_sgpr17
	s_lshr_b32 s1, s14, 16
	s_branch .LBB32_2
	.section	.rodata,"a",@progbits
	.p2align	6, 0x0
	.amdhsa_kernel _ZN2at6native31max_unpooling3d_backward_kernelIdEEvPKT_lllN5torch10headeronly6detail27GenericPackedTensorAccessorINS7_14TensorAccessorIN3c108ArrayRefIlEElLm3ENS6_16DefaultPtrTraitsElEENS_6detail16IndexBoundsCheckILm4ElEElLm4ESD_lEENS8_INS9_ISC_S2_Lm3ESD_lEESH_S2_Lm4ESD_lEEi
		.amdhsa_group_segment_fixed_size 0
		.amdhsa_private_segment_fixed_size 0
		.amdhsa_kernarg_size 440
		.amdhsa_user_sgpr_count 6
		.amdhsa_user_sgpr_private_segment_buffer 1
		.amdhsa_user_sgpr_dispatch_ptr 0
		.amdhsa_user_sgpr_queue_ptr 0
		.amdhsa_user_sgpr_kernarg_segment_ptr 1
		.amdhsa_user_sgpr_dispatch_id 0
		.amdhsa_user_sgpr_flat_scratch_init 0
		.amdhsa_user_sgpr_private_segment_size 0
		.amdhsa_uses_dynamic_stack 0
		.amdhsa_system_sgpr_private_segment_wavefront_offset 0
		.amdhsa_system_sgpr_workgroup_id_x 1
		.amdhsa_system_sgpr_workgroup_id_y 1
		.amdhsa_system_sgpr_workgroup_id_z 1
		.amdhsa_system_sgpr_workgroup_info 0
		.amdhsa_system_vgpr_workitem_id 1
		.amdhsa_next_free_vgpr 12
		.amdhsa_next_free_sgpr 27
		.amdhsa_reserve_vcc 1
		.amdhsa_reserve_flat_scratch 0
		.amdhsa_float_round_mode_32 0
		.amdhsa_float_round_mode_16_64 0
		.amdhsa_float_denorm_mode_32 3
		.amdhsa_float_denorm_mode_16_64 3
		.amdhsa_dx10_clamp 1
		.amdhsa_ieee_mode 1
		.amdhsa_fp16_overflow 0
		.amdhsa_exception_fp_ieee_invalid_op 0
		.amdhsa_exception_fp_denorm_src 0
		.amdhsa_exception_fp_ieee_div_zero 0
		.amdhsa_exception_fp_ieee_overflow 0
		.amdhsa_exception_fp_ieee_underflow 0
		.amdhsa_exception_fp_ieee_inexact 0
		.amdhsa_exception_int_div_zero 0
	.end_amdhsa_kernel
	.section	.text._ZN2at6native31max_unpooling3d_backward_kernelIdEEvPKT_lllN5torch10headeronly6detail27GenericPackedTensorAccessorINS7_14TensorAccessorIN3c108ArrayRefIlEElLm3ENS6_16DefaultPtrTraitsElEENS_6detail16IndexBoundsCheckILm4ElEElLm4ESD_lEENS8_INS9_ISC_S2_Lm3ESD_lEESH_S2_Lm4ESD_lEEi,"axG",@progbits,_ZN2at6native31max_unpooling3d_backward_kernelIdEEvPKT_lllN5torch10headeronly6detail27GenericPackedTensorAccessorINS7_14TensorAccessorIN3c108ArrayRefIlEElLm3ENS6_16DefaultPtrTraitsElEENS_6detail16IndexBoundsCheckILm4ElEElLm4ESD_lEENS8_INS9_ISC_S2_Lm3ESD_lEESH_S2_Lm4ESD_lEEi,comdat
.Lfunc_end32:
	.size	_ZN2at6native31max_unpooling3d_backward_kernelIdEEvPKT_lllN5torch10headeronly6detail27GenericPackedTensorAccessorINS7_14TensorAccessorIN3c108ArrayRefIlEElLm3ENS6_16DefaultPtrTraitsElEENS_6detail16IndexBoundsCheckILm4ElEElLm4ESD_lEENS8_INS9_ISC_S2_Lm3ESD_lEESH_S2_Lm4ESD_lEEi, .Lfunc_end32-_ZN2at6native31max_unpooling3d_backward_kernelIdEEvPKT_lllN5torch10headeronly6detail27GenericPackedTensorAccessorINS7_14TensorAccessorIN3c108ArrayRefIlEElLm3ENS6_16DefaultPtrTraitsElEENS_6detail16IndexBoundsCheckILm4ElEElLm4ESD_lEENS8_INS9_ISC_S2_Lm3ESD_lEESH_S2_Lm4ESD_lEEi
                                        ; -- End function
	.set _ZN2at6native31max_unpooling3d_backward_kernelIdEEvPKT_lllN5torch10headeronly6detail27GenericPackedTensorAccessorINS7_14TensorAccessorIN3c108ArrayRefIlEElLm3ENS6_16DefaultPtrTraitsElEENS_6detail16IndexBoundsCheckILm4ElEElLm4ESD_lEENS8_INS9_ISC_S2_Lm3ESD_lEESH_S2_Lm4ESD_lEEi.num_vgpr, 12
	.set _ZN2at6native31max_unpooling3d_backward_kernelIdEEvPKT_lllN5torch10headeronly6detail27GenericPackedTensorAccessorINS7_14TensorAccessorIN3c108ArrayRefIlEElLm3ENS6_16DefaultPtrTraitsElEENS_6detail16IndexBoundsCheckILm4ElEElLm4ESD_lEENS8_INS9_ISC_S2_Lm3ESD_lEESH_S2_Lm4ESD_lEEi.num_agpr, 0
	.set _ZN2at6native31max_unpooling3d_backward_kernelIdEEvPKT_lllN5torch10headeronly6detail27GenericPackedTensorAccessorINS7_14TensorAccessorIN3c108ArrayRefIlEElLm3ENS6_16DefaultPtrTraitsElEENS_6detail16IndexBoundsCheckILm4ElEElLm4ESD_lEENS8_INS9_ISC_S2_Lm3ESD_lEESH_S2_Lm4ESD_lEEi.numbered_sgpr, 27
	.set _ZN2at6native31max_unpooling3d_backward_kernelIdEEvPKT_lllN5torch10headeronly6detail27GenericPackedTensorAccessorINS7_14TensorAccessorIN3c108ArrayRefIlEElLm3ENS6_16DefaultPtrTraitsElEENS_6detail16IndexBoundsCheckILm4ElEElLm4ESD_lEENS8_INS9_ISC_S2_Lm3ESD_lEESH_S2_Lm4ESD_lEEi.num_named_barrier, 0
	.set _ZN2at6native31max_unpooling3d_backward_kernelIdEEvPKT_lllN5torch10headeronly6detail27GenericPackedTensorAccessorINS7_14TensorAccessorIN3c108ArrayRefIlEElLm3ENS6_16DefaultPtrTraitsElEENS_6detail16IndexBoundsCheckILm4ElEElLm4ESD_lEENS8_INS9_ISC_S2_Lm3ESD_lEESH_S2_Lm4ESD_lEEi.private_seg_size, 0
	.set _ZN2at6native31max_unpooling3d_backward_kernelIdEEvPKT_lllN5torch10headeronly6detail27GenericPackedTensorAccessorINS7_14TensorAccessorIN3c108ArrayRefIlEElLm3ENS6_16DefaultPtrTraitsElEENS_6detail16IndexBoundsCheckILm4ElEElLm4ESD_lEENS8_INS9_ISC_S2_Lm3ESD_lEESH_S2_Lm4ESD_lEEi.uses_vcc, 1
	.set _ZN2at6native31max_unpooling3d_backward_kernelIdEEvPKT_lllN5torch10headeronly6detail27GenericPackedTensorAccessorINS7_14TensorAccessorIN3c108ArrayRefIlEElLm3ENS6_16DefaultPtrTraitsElEENS_6detail16IndexBoundsCheckILm4ElEElLm4ESD_lEENS8_INS9_ISC_S2_Lm3ESD_lEESH_S2_Lm4ESD_lEEi.uses_flat_scratch, 0
	.set _ZN2at6native31max_unpooling3d_backward_kernelIdEEvPKT_lllN5torch10headeronly6detail27GenericPackedTensorAccessorINS7_14TensorAccessorIN3c108ArrayRefIlEElLm3ENS6_16DefaultPtrTraitsElEENS_6detail16IndexBoundsCheckILm4ElEElLm4ESD_lEENS8_INS9_ISC_S2_Lm3ESD_lEESH_S2_Lm4ESD_lEEi.has_dyn_sized_stack, 0
	.set _ZN2at6native31max_unpooling3d_backward_kernelIdEEvPKT_lllN5torch10headeronly6detail27GenericPackedTensorAccessorINS7_14TensorAccessorIN3c108ArrayRefIlEElLm3ENS6_16DefaultPtrTraitsElEENS_6detail16IndexBoundsCheckILm4ElEElLm4ESD_lEENS8_INS9_ISC_S2_Lm3ESD_lEESH_S2_Lm4ESD_lEEi.has_recursion, 0
	.set _ZN2at6native31max_unpooling3d_backward_kernelIdEEvPKT_lllN5torch10headeronly6detail27GenericPackedTensorAccessorINS7_14TensorAccessorIN3c108ArrayRefIlEElLm3ENS6_16DefaultPtrTraitsElEENS_6detail16IndexBoundsCheckILm4ElEElLm4ESD_lEENS8_INS9_ISC_S2_Lm3ESD_lEESH_S2_Lm4ESD_lEEi.has_indirect_call, 0
	.section	.AMDGPU.csdata,"",@progbits
; Kernel info:
; codeLenInByte = 1348
; TotalNumSgprs: 31
; NumVgprs: 12
; ScratchSize: 0
; MemoryBound: 0
; FloatMode: 240
; IeeeMode: 1
; LDSByteSize: 0 bytes/workgroup (compile time only)
; SGPRBlocks: 3
; VGPRBlocks: 2
; NumSGPRsForWavesPerEU: 31
; NumVGPRsForWavesPerEU: 12
; Occupancy: 10
; WaveLimiterHint : 1
; COMPUTE_PGM_RSRC2:SCRATCH_EN: 0
; COMPUTE_PGM_RSRC2:USER_SGPR: 6
; COMPUTE_PGM_RSRC2:TRAP_HANDLER: 0
; COMPUTE_PGM_RSRC2:TGID_X_EN: 1
; COMPUTE_PGM_RSRC2:TGID_Y_EN: 1
; COMPUTE_PGM_RSRC2:TGID_Z_EN: 1
; COMPUTE_PGM_RSRC2:TIDIG_COMP_CNT: 1
	.section	.text._ZN2at6native31max_unpooling3d_backward_kernelIfEEvPKT_lllN5torch10headeronly6detail27GenericPackedTensorAccessorINS7_14TensorAccessorIN3c108ArrayRefIlEElLm3ENS6_16DefaultPtrTraitsElEENS_6detail16IndexBoundsCheckILm4ElEElLm4ESD_lEENS8_INS9_ISC_S2_Lm3ESD_lEESH_S2_Lm4ESD_lEEi,"axG",@progbits,_ZN2at6native31max_unpooling3d_backward_kernelIfEEvPKT_lllN5torch10headeronly6detail27GenericPackedTensorAccessorINS7_14TensorAccessorIN3c108ArrayRefIlEElLm3ENS6_16DefaultPtrTraitsElEENS_6detail16IndexBoundsCheckILm4ElEElLm4ESD_lEENS8_INS9_ISC_S2_Lm3ESD_lEESH_S2_Lm4ESD_lEEi,comdat
	.protected	_ZN2at6native31max_unpooling3d_backward_kernelIfEEvPKT_lllN5torch10headeronly6detail27GenericPackedTensorAccessorINS7_14TensorAccessorIN3c108ArrayRefIlEElLm3ENS6_16DefaultPtrTraitsElEENS_6detail16IndexBoundsCheckILm4ElEElLm4ESD_lEENS8_INS9_ISC_S2_Lm3ESD_lEESH_S2_Lm4ESD_lEEi ; -- Begin function _ZN2at6native31max_unpooling3d_backward_kernelIfEEvPKT_lllN5torch10headeronly6detail27GenericPackedTensorAccessorINS7_14TensorAccessorIN3c108ArrayRefIlEElLm3ENS6_16DefaultPtrTraitsElEENS_6detail16IndexBoundsCheckILm4ElEElLm4ESD_lEENS8_INS9_ISC_S2_Lm3ESD_lEESH_S2_Lm4ESD_lEEi
	.globl	_ZN2at6native31max_unpooling3d_backward_kernelIfEEvPKT_lllN5torch10headeronly6detail27GenericPackedTensorAccessorINS7_14TensorAccessorIN3c108ArrayRefIlEElLm3ENS6_16DefaultPtrTraitsElEENS_6detail16IndexBoundsCheckILm4ElEElLm4ESD_lEENS8_INS9_ISC_S2_Lm3ESD_lEESH_S2_Lm4ESD_lEEi
	.p2align	8
	.type	_ZN2at6native31max_unpooling3d_backward_kernelIfEEvPKT_lllN5torch10headeronly6detail27GenericPackedTensorAccessorINS7_14TensorAccessorIN3c108ArrayRefIlEElLm3ENS6_16DefaultPtrTraitsElEENS_6detail16IndexBoundsCheckILm4ElEElLm4ESD_lEENS8_INS9_ISC_S2_Lm3ESD_lEESH_S2_Lm4ESD_lEEi,@function
_ZN2at6native31max_unpooling3d_backward_kernelIfEEvPKT_lllN5torch10headeronly6detail27GenericPackedTensorAccessorINS7_14TensorAccessorIN3c108ArrayRefIlEElLm3ENS6_16DefaultPtrTraitsElEENS_6detail16IndexBoundsCheckILm4ElEElLm4ESD_lEENS8_INS9_ISC_S2_Lm3ESD_lEESH_S2_Lm4ESD_lEEi: ; @_ZN2at6native31max_unpooling3d_backward_kernelIfEEvPKT_lllN5torch10headeronly6detail27GenericPackedTensorAccessorINS7_14TensorAccessorIN3c108ArrayRefIlEElLm3ENS6_16DefaultPtrTraitsElEENS_6detail16IndexBoundsCheckILm4ElEElLm4ESD_lEENS8_INS9_ISC_S2_Lm3ESD_lEESH_S2_Lm4ESD_lEEi
; %bb.0:
	s_load_dword s9, s[4:5], 0xb0
	s_load_dwordx2 s[0:1], s[4:5], 0x78
	s_load_dword s14, s[4:5], 0xc4
	s_add_u32 s2, s4, 0xb8
	s_addc_u32 s3, s5, 0
	s_waitcnt lgkmcnt(0)
	s_add_i32 s18, s9, s8
	s_mov_b32 s8, 0
	s_mov_b32 s9, s1
	s_cmp_lg_u64 s[8:9], 0
	s_cbranch_scc0 .LBB33_7
; %bb.1:
	s_ashr_i32 s10, s1, 31
	s_add_u32 s8, s0, s10
	s_mov_b32 s11, s10
	s_addc_u32 s9, s1, s10
	s_xor_b64 s[12:13], s[8:9], s[10:11]
	v_cvt_f32_u32_e32 v2, s12
	v_cvt_f32_u32_e32 v3, s13
	s_sub_u32 s1, 0, s12
	s_subb_u32 s15, 0, s13
	v_madmk_f32 v2, v3, 0x4f800000, v2
	v_rcp_f32_e32 v2, v2
	v_mul_f32_e32 v2, 0x5f7ffffc, v2
	v_mul_f32_e32 v3, 0x2f800000, v2
	v_trunc_f32_e32 v3, v3
	v_madmk_f32 v2, v3, 0xcf800000, v2
	v_cvt_u32_f32_e32 v3, v3
	v_cvt_u32_f32_e32 v2, v2
	v_readfirstlane_b32 s19, v3
	v_readfirstlane_b32 s16, v2
	s_mul_i32 s17, s1, s19
	s_mul_hi_u32 s21, s1, s16
	s_mul_i32 s20, s15, s16
	s_add_i32 s17, s21, s17
	s_add_i32 s17, s17, s20
	s_mul_i32 s22, s1, s16
	s_mul_i32 s21, s16, s17
	s_mul_hi_u32 s23, s16, s22
	s_mul_hi_u32 s20, s16, s17
	s_add_u32 s21, s23, s21
	s_addc_u32 s20, 0, s20
	s_mul_hi_u32 s24, s19, s22
	s_mul_i32 s22, s19, s22
	s_add_u32 s21, s21, s22
	s_mul_hi_u32 s23, s19, s17
	s_addc_u32 s20, s20, s24
	s_addc_u32 s21, s23, 0
	s_mul_i32 s17, s19, s17
	s_add_u32 s17, s20, s17
	s_addc_u32 s20, 0, s21
	s_add_u32 s21, s16, s17
	s_cselect_b64 s[16:17], -1, 0
	s_cmp_lg_u64 s[16:17], 0
	s_addc_u32 s19, s19, s20
	s_mul_i32 s16, s1, s19
	s_mul_hi_u32 s17, s1, s21
	s_add_i32 s16, s17, s16
	s_mul_i32 s15, s15, s21
	s_add_i32 s16, s16, s15
	s_mul_i32 s1, s1, s21
	s_mul_hi_u32 s17, s19, s1
	s_mul_i32 s20, s19, s1
	s_mul_i32 s23, s21, s16
	s_mul_hi_u32 s1, s21, s1
	s_mul_hi_u32 s22, s21, s16
	s_add_u32 s1, s1, s23
	s_addc_u32 s22, 0, s22
	s_add_u32 s1, s1, s20
	s_mul_hi_u32 s15, s19, s16
	s_addc_u32 s1, s22, s17
	s_addc_u32 s15, s15, 0
	s_mul_i32 s16, s19, s16
	s_add_u32 s1, s1, s16
	s_addc_u32 s15, 0, s15
	s_add_u32 s1, s21, s1
	s_cselect_b64 s[16:17], -1, 0
	s_cmp_lg_u64 s[16:17], 0
	s_addc_u32 s15, s19, s15
	s_add_u32 s16, s18, 0
	s_addc_u32 s17, 0, 0
	s_xor_b64 s[16:17], s[16:17], 0
	s_mul_i32 s20, s16, s15
	s_mul_hi_u32 s21, s16, s1
	s_mul_hi_u32 s19, s16, s15
	s_add_u32 s20, s21, s20
	s_addc_u32 s19, 0, s19
	s_mul_hi_u32 s22, s17, s1
	s_mul_i32 s1, s17, s1
	s_add_u32 s1, s20, s1
	s_mul_hi_u32 s21, s17, s15
	s_addc_u32 s1, s19, s22
	s_addc_u32 s19, s21, 0
	s_mul_i32 s15, s17, s15
	s_add_u32 s1, s1, s15
	s_addc_u32 s15, 0, s19
	s_mul_i32 s19, s12, s15
	s_mul_hi_u32 s20, s12, s1
	s_add_i32 s19, s20, s19
	s_mul_i32 s20, s13, s1
	s_add_i32 s19, s19, s20
	s_sub_i32 s22, s17, s19
	s_mul_i32 s20, s12, s1
	s_sub_u32 s16, s16, s20
	s_cselect_b64 s[20:21], -1, 0
	s_cmp_lg_u64 s[20:21], 0
	s_subb_u32 s24, s22, s13
	s_sub_u32 s25, s16, s12
	s_cselect_b64 s[22:23], -1, 0
	s_cmp_lg_u64 s[22:23], 0
	s_subb_u32 s22, s24, 0
	s_cmp_ge_u32 s22, s13
	s_cselect_b32 s23, -1, 0
	s_cmp_ge_u32 s25, s12
	s_cselect_b32 s24, -1, 0
	s_cmp_eq_u32 s22, s13
	s_cselect_b32 s22, s24, s23
	s_add_u32 s23, s1, 1
	s_addc_u32 s24, s15, 0
	s_add_u32 s25, s1, 2
	s_addc_u32 s26, s15, 0
	s_cmp_lg_u32 s22, 0
	s_cselect_b32 s22, s25, s23
	s_cselect_b32 s23, s26, s24
	s_cmp_lg_u64 s[20:21], 0
	s_subb_u32 s17, s17, s19
	s_cmp_ge_u32 s17, s13
	s_cselect_b32 s19, -1, 0
	s_cmp_ge_u32 s16, s12
	s_cselect_b32 s12, -1, 0
	s_cmp_eq_u32 s17, s13
	s_cselect_b32 s12, s12, s19
	s_cmp_lg_u32 s12, 0
	s_cselect_b32 s13, s23, s15
	s_cselect_b32 s12, s22, s1
	s_xor_b64 s[10:11], 0, s[10:11]
	s_xor_b64 s[12:13], s[12:13], s[10:11]
	s_sub_u32 s16, s12, s10
	s_subb_u32 s17, s13, s11
	s_lshr_b32 s1, s14, 16
	s_cbranch_execnz .LBB33_3
.LBB33_2:
	v_cvt_f32_u32_e32 v2, s0
	s_sub_i32 s8, 0, s0
	s_mov_b32 s17, 0
	v_rcp_iflag_f32_e32 v2, v2
	v_mul_f32_e32 v2, 0x4f7ffffe, v2
	v_cvt_u32_f32_e32 v2, v2
	v_readfirstlane_b32 s9, v2
	s_mul_i32 s8, s8, s9
	s_mul_hi_u32 s8, s9, s8
	s_add_i32 s9, s9, s8
	s_mul_hi_u32 s8, s18, s9
	s_mul_i32 s10, s8, s0
	s_sub_i32 s10, s18, s10
	s_add_i32 s9, s8, 1
	s_sub_i32 s11, s10, s0
	s_cmp_ge_u32 s10, s0
	s_cselect_b32 s8, s9, s8
	s_cselect_b32 s10, s11, s10
	s_add_i32 s9, s8, 1
	s_cmp_ge_u32 s10, s0
	s_cselect_b32 s16, s9, s8
.LBB33_3:
	s_load_dwordx2 s[8:9], s[4:5], 0x80
	s_and_b32 s1, 0xffff, s1
	s_mul_i32 s7, s7, s1
	v_add_u32_e32 v1, s7, v1
	v_ashrrev_i32_e32 v2, 31, v1
	s_waitcnt lgkmcnt(0)
	v_cmp_gt_i64_e32 vcc, s[8:9], v[1:2]
	s_and_saveexec_b64 s[8:9], vcc
	s_cbranch_execz .LBB33_6
; %bb.4:
	s_load_dword s1, s[2:3], 0xc
	s_load_dwordx2 s[8:9], s[4:5], 0x88
	s_waitcnt lgkmcnt(0)
	s_and_b32 s1, s1, 0xffff
	s_mul_i32 s6, s6, s1
	v_add_u32_e32 v3, s6, v0
	v_ashrrev_i32_e32 v4, 31, v3
	v_cmp_gt_i64_e32 vcc, s[8:9], v[3:4]
	s_and_b64 exec, exec, vcc
	s_cbranch_execz .LBB33_6
; %bb.5:
	s_load_dwordx8 s[8:15], s[4:5], 0x48
	s_mul_i32 s6, s16, s0
	s_load_dwordx2 s[2:3], s[4:5], 0x20
	s_bfe_i64 s[0:1], s[16:17], 0x200000
	s_sub_i32 s17, s18, s6
	s_waitcnt lgkmcnt(0)
	s_mul_i32 s0, s8, s1
	s_mul_hi_u32 s6, s8, s16
	s_add_i32 s0, s6, s0
	s_mul_i32 s6, s9, s16
	s_add_i32 s7, s0, s6
	s_mul_i32 s6, s8, s16
	s_lshl_b64 s[6:7], s[6:7], 3
	s_add_u32 s0, s2, s6
	s_addc_u32 s8, s3, s7
	s_ashr_i32 s18, s17, 31
	s_mul_i32 s2, s10, s18
	s_mul_hi_u32 s3, s10, s17
	s_add_i32 s2, s3, s2
	s_mul_i32 s3, s11, s17
	s_add_i32 s3, s2, s3
	s_mul_i32 s2, s10, s17
	v_mul_lo_u32 v0, s13, v1
	v_mul_lo_u32 v7, s12, v2
	v_mad_u64_u32 v[5:6], s[6:7], s12, v1, 0
	s_lshl_b64 s[2:3], s[2:3], 3
	s_add_u32 s0, s0, s2
	s_addc_u32 s2, s8, s3
	v_add3_u32 v6, v6, v7, v0
	v_mov_b32_e32 v0, s2
	v_mul_lo_u32 v9, s15, v3
	v_mul_lo_u32 v10, s14, v4
	v_mad_u64_u32 v[7:8], s[2:3], s14, v3, 0
	v_lshlrev_b64 v[5:6], 3, v[5:6]
	s_load_dwordx8 s[8:15], s[4:5], 0x0
	v_add_co_u32_e32 v11, vcc, s0, v5
	v_add3_u32 v8, v8, v10, v9
	v_addc_co_u32_e32 v0, vcc, v0, v6, vcc
	v_lshlrev_b64 v[5:6], 3, v[7:8]
	s_waitcnt lgkmcnt(0)
	s_mul_i32 s0, s12, s11
	v_add_co_u32_e32 v5, vcc, v11, v5
	v_addc_co_u32_e32 v6, vcc, v0, v6, vcc
	global_load_dwordx2 v[5:6], v[5:6], off
	s_mul_hi_u32 s3, s12, s10
	s_mul_i32 s6, s13, s10
	s_mul_i32 s2, s12, s10
	s_add_i32 s0, s3, s0
	s_mul_i32 s7, s2, s15
	s_mul_hi_u32 s10, s2, s14
	s_add_i32 s0, s0, s6
	s_mul_i32 s2, s2, s14
	s_add_i32 s3, s10, s7
	s_mul_i32 s0, s0, s14
	s_mul_i32 s11, s2, s1
	s_mul_hi_u32 s12, s2, s16
	s_add_i32 s0, s3, s0
	s_add_i32 s7, s12, s11
	s_mul_i32 s0, s0, s16
	s_mul_i32 s2, s2, s16
	s_add_i32 s3, s7, s0
	s_lshl_b64 s[2:3], s[2:3], 2
	s_add_u32 s0, s8, s2
	s_addc_u32 s2, s9, s3
	v_mov_b32_e32 v0, s2
	s_waitcnt vmcnt(0)
	v_lshlrev_b64 v[5:6], 2, v[5:6]
	v_add_co_u32_e32 v5, vcc, s0, v5
	v_addc_co_u32_e32 v6, vcc, v0, v6, vcc
	global_load_dword v5, v[5:6], off
	s_load_dwordx8 s[8:15], s[4:5], 0x90
	s_load_dwordx2 s[2:3], s[4:5], 0x68
	s_waitcnt lgkmcnt(0)
	s_mul_i32 s0, s8, s1
	s_mul_hi_u32 s1, s8, s16
	s_add_i32 s0, s1, s0
	s_mul_i32 s1, s9, s16
	s_add_i32 s1, s0, s1
	s_mul_i32 s0, s8, s16
	s_lshl_b64 s[0:1], s[0:1], 2
	s_add_u32 s4, s2, s0
	s_addc_u32 s5, s3, s1
	s_mul_i32 s0, s10, s18
	s_mul_hi_u32 s1, s10, s17
	s_add_i32 s0, s1, s0
	s_mul_i32 s1, s11, s17
	s_add_i32 s1, s0, s1
	s_mul_i32 s0, s10, s17
	v_mul_lo_u32 v6, s13, v1
	v_mul_lo_u32 v2, s12, v2
	v_mad_u64_u32 v[0:1], s[2:3], s12, v1, 0
	s_lshl_b64 s[0:1], s[0:1], 2
	s_add_u32 s2, s4, s0
	s_addc_u32 s0, s5, s1
	v_add3_u32 v1, v1, v2, v6
	v_mov_b32_e32 v6, s0
	v_mul_lo_u32 v7, s15, v3
	v_mul_lo_u32 v4, s14, v4
	v_mad_u64_u32 v[2:3], s[0:1], s14, v3, 0
	v_lshlrev_b64 v[0:1], 2, v[0:1]
	v_add_co_u32_e32 v8, vcc, s2, v0
	v_add3_u32 v3, v3, v4, v7
	v_addc_co_u32_e32 v6, vcc, v6, v1, vcc
	v_lshlrev_b64 v[0:1], 2, v[2:3]
	v_add_co_u32_e32 v0, vcc, v8, v0
	v_addc_co_u32_e32 v1, vcc, v6, v1, vcc
	s_waitcnt vmcnt(0)
	global_store_dword v[0:1], v5, off
.LBB33_6:
	s_endpgm
.LBB33_7:
                                        ; implicit-def: $sgpr16_sgpr17
	s_lshr_b32 s1, s14, 16
	s_branch .LBB33_2
	.section	.rodata,"a",@progbits
	.p2align	6, 0x0
	.amdhsa_kernel _ZN2at6native31max_unpooling3d_backward_kernelIfEEvPKT_lllN5torch10headeronly6detail27GenericPackedTensorAccessorINS7_14TensorAccessorIN3c108ArrayRefIlEElLm3ENS6_16DefaultPtrTraitsElEENS_6detail16IndexBoundsCheckILm4ElEElLm4ESD_lEENS8_INS9_ISC_S2_Lm3ESD_lEESH_S2_Lm4ESD_lEEi
		.amdhsa_group_segment_fixed_size 0
		.amdhsa_private_segment_fixed_size 0
		.amdhsa_kernarg_size 440
		.amdhsa_user_sgpr_count 6
		.amdhsa_user_sgpr_private_segment_buffer 1
		.amdhsa_user_sgpr_dispatch_ptr 0
		.amdhsa_user_sgpr_queue_ptr 0
		.amdhsa_user_sgpr_kernarg_segment_ptr 1
		.amdhsa_user_sgpr_dispatch_id 0
		.amdhsa_user_sgpr_flat_scratch_init 0
		.amdhsa_user_sgpr_private_segment_size 0
		.amdhsa_uses_dynamic_stack 0
		.amdhsa_system_sgpr_private_segment_wavefront_offset 0
		.amdhsa_system_sgpr_workgroup_id_x 1
		.amdhsa_system_sgpr_workgroup_id_y 1
		.amdhsa_system_sgpr_workgroup_id_z 1
		.amdhsa_system_sgpr_workgroup_info 0
		.amdhsa_system_vgpr_workitem_id 1
		.amdhsa_next_free_vgpr 12
		.amdhsa_next_free_sgpr 27
		.amdhsa_reserve_vcc 1
		.amdhsa_reserve_flat_scratch 0
		.amdhsa_float_round_mode_32 0
		.amdhsa_float_round_mode_16_64 0
		.amdhsa_float_denorm_mode_32 3
		.amdhsa_float_denorm_mode_16_64 3
		.amdhsa_dx10_clamp 1
		.amdhsa_ieee_mode 1
		.amdhsa_fp16_overflow 0
		.amdhsa_exception_fp_ieee_invalid_op 0
		.amdhsa_exception_fp_denorm_src 0
		.amdhsa_exception_fp_ieee_div_zero 0
		.amdhsa_exception_fp_ieee_overflow 0
		.amdhsa_exception_fp_ieee_underflow 0
		.amdhsa_exception_fp_ieee_inexact 0
		.amdhsa_exception_int_div_zero 0
	.end_amdhsa_kernel
	.section	.text._ZN2at6native31max_unpooling3d_backward_kernelIfEEvPKT_lllN5torch10headeronly6detail27GenericPackedTensorAccessorINS7_14TensorAccessorIN3c108ArrayRefIlEElLm3ENS6_16DefaultPtrTraitsElEENS_6detail16IndexBoundsCheckILm4ElEElLm4ESD_lEENS8_INS9_ISC_S2_Lm3ESD_lEESH_S2_Lm4ESD_lEEi,"axG",@progbits,_ZN2at6native31max_unpooling3d_backward_kernelIfEEvPKT_lllN5torch10headeronly6detail27GenericPackedTensorAccessorINS7_14TensorAccessorIN3c108ArrayRefIlEElLm3ENS6_16DefaultPtrTraitsElEENS_6detail16IndexBoundsCheckILm4ElEElLm4ESD_lEENS8_INS9_ISC_S2_Lm3ESD_lEESH_S2_Lm4ESD_lEEi,comdat
.Lfunc_end33:
	.size	_ZN2at6native31max_unpooling3d_backward_kernelIfEEvPKT_lllN5torch10headeronly6detail27GenericPackedTensorAccessorINS7_14TensorAccessorIN3c108ArrayRefIlEElLm3ENS6_16DefaultPtrTraitsElEENS_6detail16IndexBoundsCheckILm4ElEElLm4ESD_lEENS8_INS9_ISC_S2_Lm3ESD_lEESH_S2_Lm4ESD_lEEi, .Lfunc_end33-_ZN2at6native31max_unpooling3d_backward_kernelIfEEvPKT_lllN5torch10headeronly6detail27GenericPackedTensorAccessorINS7_14TensorAccessorIN3c108ArrayRefIlEElLm3ENS6_16DefaultPtrTraitsElEENS_6detail16IndexBoundsCheckILm4ElEElLm4ESD_lEENS8_INS9_ISC_S2_Lm3ESD_lEESH_S2_Lm4ESD_lEEi
                                        ; -- End function
	.set _ZN2at6native31max_unpooling3d_backward_kernelIfEEvPKT_lllN5torch10headeronly6detail27GenericPackedTensorAccessorINS7_14TensorAccessorIN3c108ArrayRefIlEElLm3ENS6_16DefaultPtrTraitsElEENS_6detail16IndexBoundsCheckILm4ElEElLm4ESD_lEENS8_INS9_ISC_S2_Lm3ESD_lEESH_S2_Lm4ESD_lEEi.num_vgpr, 12
	.set _ZN2at6native31max_unpooling3d_backward_kernelIfEEvPKT_lllN5torch10headeronly6detail27GenericPackedTensorAccessorINS7_14TensorAccessorIN3c108ArrayRefIlEElLm3ENS6_16DefaultPtrTraitsElEENS_6detail16IndexBoundsCheckILm4ElEElLm4ESD_lEENS8_INS9_ISC_S2_Lm3ESD_lEESH_S2_Lm4ESD_lEEi.num_agpr, 0
	.set _ZN2at6native31max_unpooling3d_backward_kernelIfEEvPKT_lllN5torch10headeronly6detail27GenericPackedTensorAccessorINS7_14TensorAccessorIN3c108ArrayRefIlEElLm3ENS6_16DefaultPtrTraitsElEENS_6detail16IndexBoundsCheckILm4ElEElLm4ESD_lEENS8_INS9_ISC_S2_Lm3ESD_lEESH_S2_Lm4ESD_lEEi.numbered_sgpr, 27
	.set _ZN2at6native31max_unpooling3d_backward_kernelIfEEvPKT_lllN5torch10headeronly6detail27GenericPackedTensorAccessorINS7_14TensorAccessorIN3c108ArrayRefIlEElLm3ENS6_16DefaultPtrTraitsElEENS_6detail16IndexBoundsCheckILm4ElEElLm4ESD_lEENS8_INS9_ISC_S2_Lm3ESD_lEESH_S2_Lm4ESD_lEEi.num_named_barrier, 0
	.set _ZN2at6native31max_unpooling3d_backward_kernelIfEEvPKT_lllN5torch10headeronly6detail27GenericPackedTensorAccessorINS7_14TensorAccessorIN3c108ArrayRefIlEElLm3ENS6_16DefaultPtrTraitsElEENS_6detail16IndexBoundsCheckILm4ElEElLm4ESD_lEENS8_INS9_ISC_S2_Lm3ESD_lEESH_S2_Lm4ESD_lEEi.private_seg_size, 0
	.set _ZN2at6native31max_unpooling3d_backward_kernelIfEEvPKT_lllN5torch10headeronly6detail27GenericPackedTensorAccessorINS7_14TensorAccessorIN3c108ArrayRefIlEElLm3ENS6_16DefaultPtrTraitsElEENS_6detail16IndexBoundsCheckILm4ElEElLm4ESD_lEENS8_INS9_ISC_S2_Lm3ESD_lEESH_S2_Lm4ESD_lEEi.uses_vcc, 1
	.set _ZN2at6native31max_unpooling3d_backward_kernelIfEEvPKT_lllN5torch10headeronly6detail27GenericPackedTensorAccessorINS7_14TensorAccessorIN3c108ArrayRefIlEElLm3ENS6_16DefaultPtrTraitsElEENS_6detail16IndexBoundsCheckILm4ElEElLm4ESD_lEENS8_INS9_ISC_S2_Lm3ESD_lEESH_S2_Lm4ESD_lEEi.uses_flat_scratch, 0
	.set _ZN2at6native31max_unpooling3d_backward_kernelIfEEvPKT_lllN5torch10headeronly6detail27GenericPackedTensorAccessorINS7_14TensorAccessorIN3c108ArrayRefIlEElLm3ENS6_16DefaultPtrTraitsElEENS_6detail16IndexBoundsCheckILm4ElEElLm4ESD_lEENS8_INS9_ISC_S2_Lm3ESD_lEESH_S2_Lm4ESD_lEEi.has_dyn_sized_stack, 0
	.set _ZN2at6native31max_unpooling3d_backward_kernelIfEEvPKT_lllN5torch10headeronly6detail27GenericPackedTensorAccessorINS7_14TensorAccessorIN3c108ArrayRefIlEElLm3ENS6_16DefaultPtrTraitsElEENS_6detail16IndexBoundsCheckILm4ElEElLm4ESD_lEENS8_INS9_ISC_S2_Lm3ESD_lEESH_S2_Lm4ESD_lEEi.has_recursion, 0
	.set _ZN2at6native31max_unpooling3d_backward_kernelIfEEvPKT_lllN5torch10headeronly6detail27GenericPackedTensorAccessorINS7_14TensorAccessorIN3c108ArrayRefIlEElLm3ENS6_16DefaultPtrTraitsElEENS_6detail16IndexBoundsCheckILm4ElEElLm4ESD_lEENS8_INS9_ISC_S2_Lm3ESD_lEESH_S2_Lm4ESD_lEEi.has_indirect_call, 0
	.section	.AMDGPU.csdata,"",@progbits
; Kernel info:
; codeLenInByte = 1348
; TotalNumSgprs: 31
; NumVgprs: 12
; ScratchSize: 0
; MemoryBound: 0
; FloatMode: 240
; IeeeMode: 1
; LDSByteSize: 0 bytes/workgroup (compile time only)
; SGPRBlocks: 3
; VGPRBlocks: 2
; NumSGPRsForWavesPerEU: 31
; NumVGPRsForWavesPerEU: 12
; Occupancy: 10
; WaveLimiterHint : 1
; COMPUTE_PGM_RSRC2:SCRATCH_EN: 0
; COMPUTE_PGM_RSRC2:USER_SGPR: 6
; COMPUTE_PGM_RSRC2:TRAP_HANDLER: 0
; COMPUTE_PGM_RSRC2:TGID_X_EN: 1
; COMPUTE_PGM_RSRC2:TGID_Y_EN: 1
; COMPUTE_PGM_RSRC2:TGID_Z_EN: 1
; COMPUTE_PGM_RSRC2:TIDIG_COMP_CNT: 1
	.section	.text._ZN2at6native31max_unpooling3d_backward_kernelIN3c104HalfEEEvPKT_lllN5torch10headeronly6detail27GenericPackedTensorAccessorINS9_14TensorAccessorINS2_8ArrayRefIlEElLm3ENS8_16DefaultPtrTraitsElEENS_6detail16IndexBoundsCheckILm4ElEElLm4ESE_lEENSA_INSB_ISD_S4_Lm3ESE_lEESI_S4_Lm4ESE_lEEi,"axG",@progbits,_ZN2at6native31max_unpooling3d_backward_kernelIN3c104HalfEEEvPKT_lllN5torch10headeronly6detail27GenericPackedTensorAccessorINS9_14TensorAccessorINS2_8ArrayRefIlEElLm3ENS8_16DefaultPtrTraitsElEENS_6detail16IndexBoundsCheckILm4ElEElLm4ESE_lEENSA_INSB_ISD_S4_Lm3ESE_lEESI_S4_Lm4ESE_lEEi,comdat
	.protected	_ZN2at6native31max_unpooling3d_backward_kernelIN3c104HalfEEEvPKT_lllN5torch10headeronly6detail27GenericPackedTensorAccessorINS9_14TensorAccessorINS2_8ArrayRefIlEElLm3ENS8_16DefaultPtrTraitsElEENS_6detail16IndexBoundsCheckILm4ElEElLm4ESE_lEENSA_INSB_ISD_S4_Lm3ESE_lEESI_S4_Lm4ESE_lEEi ; -- Begin function _ZN2at6native31max_unpooling3d_backward_kernelIN3c104HalfEEEvPKT_lllN5torch10headeronly6detail27GenericPackedTensorAccessorINS9_14TensorAccessorINS2_8ArrayRefIlEElLm3ENS8_16DefaultPtrTraitsElEENS_6detail16IndexBoundsCheckILm4ElEElLm4ESE_lEENSA_INSB_ISD_S4_Lm3ESE_lEESI_S4_Lm4ESE_lEEi
	.globl	_ZN2at6native31max_unpooling3d_backward_kernelIN3c104HalfEEEvPKT_lllN5torch10headeronly6detail27GenericPackedTensorAccessorINS9_14TensorAccessorINS2_8ArrayRefIlEElLm3ENS8_16DefaultPtrTraitsElEENS_6detail16IndexBoundsCheckILm4ElEElLm4ESE_lEENSA_INSB_ISD_S4_Lm3ESE_lEESI_S4_Lm4ESE_lEEi
	.p2align	8
	.type	_ZN2at6native31max_unpooling3d_backward_kernelIN3c104HalfEEEvPKT_lllN5torch10headeronly6detail27GenericPackedTensorAccessorINS9_14TensorAccessorINS2_8ArrayRefIlEElLm3ENS8_16DefaultPtrTraitsElEENS_6detail16IndexBoundsCheckILm4ElEElLm4ESE_lEENSA_INSB_ISD_S4_Lm3ESE_lEESI_S4_Lm4ESE_lEEi,@function
_ZN2at6native31max_unpooling3d_backward_kernelIN3c104HalfEEEvPKT_lllN5torch10headeronly6detail27GenericPackedTensorAccessorINS9_14TensorAccessorINS2_8ArrayRefIlEElLm3ENS8_16DefaultPtrTraitsElEENS_6detail16IndexBoundsCheckILm4ElEElLm4ESE_lEENSA_INSB_ISD_S4_Lm3ESE_lEESI_S4_Lm4ESE_lEEi: ; @_ZN2at6native31max_unpooling3d_backward_kernelIN3c104HalfEEEvPKT_lllN5torch10headeronly6detail27GenericPackedTensorAccessorINS9_14TensorAccessorINS2_8ArrayRefIlEElLm3ENS8_16DefaultPtrTraitsElEENS_6detail16IndexBoundsCheckILm4ElEElLm4ESE_lEENSA_INSB_ISD_S4_Lm3ESE_lEESI_S4_Lm4ESE_lEEi
; %bb.0:
	s_load_dword s9, s[4:5], 0xb0
	s_load_dwordx2 s[0:1], s[4:5], 0x78
	s_load_dword s14, s[4:5], 0xc4
	s_add_u32 s2, s4, 0xb8
	s_addc_u32 s3, s5, 0
	s_waitcnt lgkmcnt(0)
	s_add_i32 s18, s9, s8
	s_mov_b32 s8, 0
	s_mov_b32 s9, s1
	s_cmp_lg_u64 s[8:9], 0
	s_cbranch_scc0 .LBB34_7
; %bb.1:
	s_ashr_i32 s10, s1, 31
	s_add_u32 s8, s0, s10
	s_mov_b32 s11, s10
	s_addc_u32 s9, s1, s10
	s_xor_b64 s[12:13], s[8:9], s[10:11]
	v_cvt_f32_u32_e32 v2, s12
	v_cvt_f32_u32_e32 v3, s13
	s_sub_u32 s1, 0, s12
	s_subb_u32 s15, 0, s13
	v_madmk_f32 v2, v3, 0x4f800000, v2
	v_rcp_f32_e32 v2, v2
	v_mul_f32_e32 v2, 0x5f7ffffc, v2
	v_mul_f32_e32 v3, 0x2f800000, v2
	v_trunc_f32_e32 v3, v3
	v_madmk_f32 v2, v3, 0xcf800000, v2
	v_cvt_u32_f32_e32 v3, v3
	v_cvt_u32_f32_e32 v2, v2
	v_readfirstlane_b32 s19, v3
	v_readfirstlane_b32 s16, v2
	s_mul_i32 s17, s1, s19
	s_mul_hi_u32 s21, s1, s16
	s_mul_i32 s20, s15, s16
	s_add_i32 s17, s21, s17
	s_add_i32 s17, s17, s20
	s_mul_i32 s22, s1, s16
	s_mul_i32 s21, s16, s17
	s_mul_hi_u32 s23, s16, s22
	s_mul_hi_u32 s20, s16, s17
	s_add_u32 s21, s23, s21
	s_addc_u32 s20, 0, s20
	s_mul_hi_u32 s24, s19, s22
	s_mul_i32 s22, s19, s22
	s_add_u32 s21, s21, s22
	s_mul_hi_u32 s23, s19, s17
	s_addc_u32 s20, s20, s24
	s_addc_u32 s21, s23, 0
	s_mul_i32 s17, s19, s17
	s_add_u32 s17, s20, s17
	s_addc_u32 s20, 0, s21
	s_add_u32 s21, s16, s17
	s_cselect_b64 s[16:17], -1, 0
	s_cmp_lg_u64 s[16:17], 0
	s_addc_u32 s19, s19, s20
	s_mul_i32 s16, s1, s19
	s_mul_hi_u32 s17, s1, s21
	s_add_i32 s16, s17, s16
	s_mul_i32 s15, s15, s21
	s_add_i32 s16, s16, s15
	s_mul_i32 s1, s1, s21
	s_mul_hi_u32 s17, s19, s1
	s_mul_i32 s20, s19, s1
	s_mul_i32 s23, s21, s16
	s_mul_hi_u32 s1, s21, s1
	s_mul_hi_u32 s22, s21, s16
	s_add_u32 s1, s1, s23
	s_addc_u32 s22, 0, s22
	s_add_u32 s1, s1, s20
	s_mul_hi_u32 s15, s19, s16
	s_addc_u32 s1, s22, s17
	s_addc_u32 s15, s15, 0
	s_mul_i32 s16, s19, s16
	s_add_u32 s1, s1, s16
	s_addc_u32 s15, 0, s15
	s_add_u32 s1, s21, s1
	s_cselect_b64 s[16:17], -1, 0
	s_cmp_lg_u64 s[16:17], 0
	s_addc_u32 s15, s19, s15
	s_add_u32 s16, s18, 0
	s_addc_u32 s17, 0, 0
	s_xor_b64 s[16:17], s[16:17], 0
	s_mul_i32 s20, s16, s15
	s_mul_hi_u32 s21, s16, s1
	s_mul_hi_u32 s19, s16, s15
	s_add_u32 s20, s21, s20
	s_addc_u32 s19, 0, s19
	s_mul_hi_u32 s22, s17, s1
	s_mul_i32 s1, s17, s1
	s_add_u32 s1, s20, s1
	s_mul_hi_u32 s21, s17, s15
	s_addc_u32 s1, s19, s22
	s_addc_u32 s19, s21, 0
	s_mul_i32 s15, s17, s15
	s_add_u32 s1, s1, s15
	s_addc_u32 s15, 0, s19
	s_mul_i32 s19, s12, s15
	s_mul_hi_u32 s20, s12, s1
	s_add_i32 s19, s20, s19
	s_mul_i32 s20, s13, s1
	s_add_i32 s19, s19, s20
	s_sub_i32 s22, s17, s19
	s_mul_i32 s20, s12, s1
	s_sub_u32 s16, s16, s20
	s_cselect_b64 s[20:21], -1, 0
	s_cmp_lg_u64 s[20:21], 0
	s_subb_u32 s24, s22, s13
	s_sub_u32 s25, s16, s12
	s_cselect_b64 s[22:23], -1, 0
	s_cmp_lg_u64 s[22:23], 0
	s_subb_u32 s22, s24, 0
	s_cmp_ge_u32 s22, s13
	s_cselect_b32 s23, -1, 0
	s_cmp_ge_u32 s25, s12
	s_cselect_b32 s24, -1, 0
	s_cmp_eq_u32 s22, s13
	s_cselect_b32 s22, s24, s23
	s_add_u32 s23, s1, 1
	s_addc_u32 s24, s15, 0
	s_add_u32 s25, s1, 2
	s_addc_u32 s26, s15, 0
	s_cmp_lg_u32 s22, 0
	s_cselect_b32 s22, s25, s23
	s_cselect_b32 s23, s26, s24
	s_cmp_lg_u64 s[20:21], 0
	s_subb_u32 s17, s17, s19
	s_cmp_ge_u32 s17, s13
	s_cselect_b32 s19, -1, 0
	s_cmp_ge_u32 s16, s12
	s_cselect_b32 s12, -1, 0
	s_cmp_eq_u32 s17, s13
	s_cselect_b32 s12, s12, s19
	s_cmp_lg_u32 s12, 0
	s_cselect_b32 s13, s23, s15
	s_cselect_b32 s12, s22, s1
	s_xor_b64 s[10:11], 0, s[10:11]
	s_xor_b64 s[12:13], s[12:13], s[10:11]
	s_sub_u32 s16, s12, s10
	s_subb_u32 s17, s13, s11
	s_lshr_b32 s1, s14, 16
	s_cbranch_execnz .LBB34_3
.LBB34_2:
	v_cvt_f32_u32_e32 v2, s0
	s_sub_i32 s8, 0, s0
	s_mov_b32 s17, 0
	v_rcp_iflag_f32_e32 v2, v2
	v_mul_f32_e32 v2, 0x4f7ffffe, v2
	v_cvt_u32_f32_e32 v2, v2
	v_readfirstlane_b32 s9, v2
	s_mul_i32 s8, s8, s9
	s_mul_hi_u32 s8, s9, s8
	s_add_i32 s9, s9, s8
	s_mul_hi_u32 s8, s18, s9
	s_mul_i32 s10, s8, s0
	s_sub_i32 s10, s18, s10
	s_add_i32 s9, s8, 1
	s_sub_i32 s11, s10, s0
	s_cmp_ge_u32 s10, s0
	s_cselect_b32 s8, s9, s8
	s_cselect_b32 s10, s11, s10
	s_add_i32 s9, s8, 1
	s_cmp_ge_u32 s10, s0
	s_cselect_b32 s16, s9, s8
.LBB34_3:
	s_load_dwordx2 s[8:9], s[4:5], 0x80
	s_and_b32 s1, 0xffff, s1
	s_mul_i32 s7, s7, s1
	v_add_u32_e32 v1, s7, v1
	v_ashrrev_i32_e32 v2, 31, v1
	s_waitcnt lgkmcnt(0)
	v_cmp_gt_i64_e32 vcc, s[8:9], v[1:2]
	s_and_saveexec_b64 s[8:9], vcc
	s_cbranch_execz .LBB34_6
; %bb.4:
	s_load_dword s1, s[2:3], 0xc
	s_load_dwordx2 s[8:9], s[4:5], 0x88
	s_waitcnt lgkmcnt(0)
	s_and_b32 s1, s1, 0xffff
	s_mul_i32 s6, s6, s1
	v_add_u32_e32 v3, s6, v0
	v_ashrrev_i32_e32 v4, 31, v3
	v_cmp_gt_i64_e32 vcc, s[8:9], v[3:4]
	s_and_b64 exec, exec, vcc
	s_cbranch_execz .LBB34_6
; %bb.5:
	s_load_dwordx8 s[8:15], s[4:5], 0x48
	s_mul_i32 s6, s16, s0
	s_load_dwordx2 s[2:3], s[4:5], 0x20
	s_bfe_i64 s[0:1], s[16:17], 0x200000
	s_sub_i32 s17, s18, s6
	s_waitcnt lgkmcnt(0)
	s_mul_i32 s0, s8, s1
	s_mul_hi_u32 s6, s8, s16
	s_add_i32 s0, s6, s0
	s_mul_i32 s6, s9, s16
	s_add_i32 s7, s0, s6
	s_mul_i32 s6, s8, s16
	s_lshl_b64 s[6:7], s[6:7], 3
	s_add_u32 s0, s2, s6
	s_addc_u32 s8, s3, s7
	s_ashr_i32 s18, s17, 31
	s_mul_i32 s2, s10, s18
	s_mul_hi_u32 s3, s10, s17
	s_add_i32 s2, s3, s2
	s_mul_i32 s3, s11, s17
	s_add_i32 s3, s2, s3
	s_mul_i32 s2, s10, s17
	v_mul_lo_u32 v0, s13, v1
	v_mul_lo_u32 v7, s12, v2
	v_mad_u64_u32 v[5:6], s[6:7], s12, v1, 0
	s_lshl_b64 s[2:3], s[2:3], 3
	s_add_u32 s0, s0, s2
	s_addc_u32 s2, s8, s3
	v_add3_u32 v6, v6, v7, v0
	v_mov_b32_e32 v0, s2
	v_mul_lo_u32 v9, s15, v3
	v_mul_lo_u32 v10, s14, v4
	v_mad_u64_u32 v[7:8], s[2:3], s14, v3, 0
	v_lshlrev_b64 v[5:6], 3, v[5:6]
	s_load_dwordx8 s[8:15], s[4:5], 0x0
	v_add_co_u32_e32 v11, vcc, s0, v5
	v_add3_u32 v8, v8, v10, v9
	v_addc_co_u32_e32 v0, vcc, v0, v6, vcc
	v_lshlrev_b64 v[5:6], 3, v[7:8]
	s_waitcnt lgkmcnt(0)
	s_mul_i32 s0, s12, s11
	v_add_co_u32_e32 v5, vcc, v11, v5
	v_addc_co_u32_e32 v6, vcc, v0, v6, vcc
	global_load_dwordx2 v[5:6], v[5:6], off
	s_mul_hi_u32 s3, s12, s10
	s_mul_i32 s6, s13, s10
	s_mul_i32 s2, s12, s10
	s_add_i32 s0, s3, s0
	s_mul_i32 s7, s2, s15
	s_mul_hi_u32 s10, s2, s14
	s_add_i32 s0, s0, s6
	s_mul_i32 s2, s2, s14
	s_add_i32 s3, s10, s7
	s_mul_i32 s0, s0, s14
	s_mul_i32 s11, s2, s1
	s_mul_hi_u32 s12, s2, s16
	s_add_i32 s0, s3, s0
	s_add_i32 s7, s12, s11
	s_mul_i32 s0, s0, s16
	s_mul_i32 s2, s2, s16
	s_add_i32 s3, s7, s0
	s_lshl_b64 s[2:3], s[2:3], 1
	s_add_u32 s0, s8, s2
	s_addc_u32 s2, s9, s3
	v_mov_b32_e32 v0, s2
	s_waitcnt vmcnt(0)
	v_lshlrev_b64 v[5:6], 1, v[5:6]
	v_add_co_u32_e32 v5, vcc, s0, v5
	v_addc_co_u32_e32 v6, vcc, v0, v6, vcc
	global_load_ushort v5, v[5:6], off
	s_load_dwordx8 s[8:15], s[4:5], 0x90
	s_load_dwordx2 s[2:3], s[4:5], 0x68
	s_waitcnt lgkmcnt(0)
	s_mul_i32 s0, s8, s1
	s_mul_hi_u32 s1, s8, s16
	s_add_i32 s0, s1, s0
	s_mul_i32 s1, s9, s16
	s_add_i32 s1, s0, s1
	s_mul_i32 s0, s8, s16
	s_lshl_b64 s[0:1], s[0:1], 1
	s_add_u32 s4, s2, s0
	s_addc_u32 s5, s3, s1
	s_mul_i32 s0, s10, s18
	s_mul_hi_u32 s1, s10, s17
	s_add_i32 s0, s1, s0
	s_mul_i32 s1, s11, s17
	s_add_i32 s1, s0, s1
	s_mul_i32 s0, s10, s17
	v_mul_lo_u32 v6, s13, v1
	v_mul_lo_u32 v2, s12, v2
	v_mad_u64_u32 v[0:1], s[2:3], s12, v1, 0
	s_lshl_b64 s[0:1], s[0:1], 1
	s_add_u32 s2, s4, s0
	s_addc_u32 s0, s5, s1
	v_add3_u32 v1, v1, v2, v6
	v_mov_b32_e32 v6, s0
	v_mul_lo_u32 v7, s15, v3
	v_mul_lo_u32 v4, s14, v4
	v_mad_u64_u32 v[2:3], s[0:1], s14, v3, 0
	v_lshlrev_b64 v[0:1], 1, v[0:1]
	v_add_co_u32_e32 v8, vcc, s2, v0
	v_add3_u32 v3, v3, v4, v7
	v_addc_co_u32_e32 v6, vcc, v6, v1, vcc
	v_lshlrev_b64 v[0:1], 1, v[2:3]
	v_add_co_u32_e32 v0, vcc, v8, v0
	v_addc_co_u32_e32 v1, vcc, v6, v1, vcc
	s_waitcnt vmcnt(0)
	global_store_short v[0:1], v5, off
.LBB34_6:
	s_endpgm
.LBB34_7:
                                        ; implicit-def: $sgpr16_sgpr17
	s_lshr_b32 s1, s14, 16
	s_branch .LBB34_2
	.section	.rodata,"a",@progbits
	.p2align	6, 0x0
	.amdhsa_kernel _ZN2at6native31max_unpooling3d_backward_kernelIN3c104HalfEEEvPKT_lllN5torch10headeronly6detail27GenericPackedTensorAccessorINS9_14TensorAccessorINS2_8ArrayRefIlEElLm3ENS8_16DefaultPtrTraitsElEENS_6detail16IndexBoundsCheckILm4ElEElLm4ESE_lEENSA_INSB_ISD_S4_Lm3ESE_lEESI_S4_Lm4ESE_lEEi
		.amdhsa_group_segment_fixed_size 0
		.amdhsa_private_segment_fixed_size 0
		.amdhsa_kernarg_size 440
		.amdhsa_user_sgpr_count 6
		.amdhsa_user_sgpr_private_segment_buffer 1
		.amdhsa_user_sgpr_dispatch_ptr 0
		.amdhsa_user_sgpr_queue_ptr 0
		.amdhsa_user_sgpr_kernarg_segment_ptr 1
		.amdhsa_user_sgpr_dispatch_id 0
		.amdhsa_user_sgpr_flat_scratch_init 0
		.amdhsa_user_sgpr_private_segment_size 0
		.amdhsa_uses_dynamic_stack 0
		.amdhsa_system_sgpr_private_segment_wavefront_offset 0
		.amdhsa_system_sgpr_workgroup_id_x 1
		.amdhsa_system_sgpr_workgroup_id_y 1
		.amdhsa_system_sgpr_workgroup_id_z 1
		.amdhsa_system_sgpr_workgroup_info 0
		.amdhsa_system_vgpr_workitem_id 1
		.amdhsa_next_free_vgpr 12
		.amdhsa_next_free_sgpr 27
		.amdhsa_reserve_vcc 1
		.amdhsa_reserve_flat_scratch 0
		.amdhsa_float_round_mode_32 0
		.amdhsa_float_round_mode_16_64 0
		.amdhsa_float_denorm_mode_32 3
		.amdhsa_float_denorm_mode_16_64 3
		.amdhsa_dx10_clamp 1
		.amdhsa_ieee_mode 1
		.amdhsa_fp16_overflow 0
		.amdhsa_exception_fp_ieee_invalid_op 0
		.amdhsa_exception_fp_denorm_src 0
		.amdhsa_exception_fp_ieee_div_zero 0
		.amdhsa_exception_fp_ieee_overflow 0
		.amdhsa_exception_fp_ieee_underflow 0
		.amdhsa_exception_fp_ieee_inexact 0
		.amdhsa_exception_int_div_zero 0
	.end_amdhsa_kernel
	.section	.text._ZN2at6native31max_unpooling3d_backward_kernelIN3c104HalfEEEvPKT_lllN5torch10headeronly6detail27GenericPackedTensorAccessorINS9_14TensorAccessorINS2_8ArrayRefIlEElLm3ENS8_16DefaultPtrTraitsElEENS_6detail16IndexBoundsCheckILm4ElEElLm4ESE_lEENSA_INSB_ISD_S4_Lm3ESE_lEESI_S4_Lm4ESE_lEEi,"axG",@progbits,_ZN2at6native31max_unpooling3d_backward_kernelIN3c104HalfEEEvPKT_lllN5torch10headeronly6detail27GenericPackedTensorAccessorINS9_14TensorAccessorINS2_8ArrayRefIlEElLm3ENS8_16DefaultPtrTraitsElEENS_6detail16IndexBoundsCheckILm4ElEElLm4ESE_lEENSA_INSB_ISD_S4_Lm3ESE_lEESI_S4_Lm4ESE_lEEi,comdat
.Lfunc_end34:
	.size	_ZN2at6native31max_unpooling3d_backward_kernelIN3c104HalfEEEvPKT_lllN5torch10headeronly6detail27GenericPackedTensorAccessorINS9_14TensorAccessorINS2_8ArrayRefIlEElLm3ENS8_16DefaultPtrTraitsElEENS_6detail16IndexBoundsCheckILm4ElEElLm4ESE_lEENSA_INSB_ISD_S4_Lm3ESE_lEESI_S4_Lm4ESE_lEEi, .Lfunc_end34-_ZN2at6native31max_unpooling3d_backward_kernelIN3c104HalfEEEvPKT_lllN5torch10headeronly6detail27GenericPackedTensorAccessorINS9_14TensorAccessorINS2_8ArrayRefIlEElLm3ENS8_16DefaultPtrTraitsElEENS_6detail16IndexBoundsCheckILm4ElEElLm4ESE_lEENSA_INSB_ISD_S4_Lm3ESE_lEESI_S4_Lm4ESE_lEEi
                                        ; -- End function
	.set _ZN2at6native31max_unpooling3d_backward_kernelIN3c104HalfEEEvPKT_lllN5torch10headeronly6detail27GenericPackedTensorAccessorINS9_14TensorAccessorINS2_8ArrayRefIlEElLm3ENS8_16DefaultPtrTraitsElEENS_6detail16IndexBoundsCheckILm4ElEElLm4ESE_lEENSA_INSB_ISD_S4_Lm3ESE_lEESI_S4_Lm4ESE_lEEi.num_vgpr, 12
	.set _ZN2at6native31max_unpooling3d_backward_kernelIN3c104HalfEEEvPKT_lllN5torch10headeronly6detail27GenericPackedTensorAccessorINS9_14TensorAccessorINS2_8ArrayRefIlEElLm3ENS8_16DefaultPtrTraitsElEENS_6detail16IndexBoundsCheckILm4ElEElLm4ESE_lEENSA_INSB_ISD_S4_Lm3ESE_lEESI_S4_Lm4ESE_lEEi.num_agpr, 0
	.set _ZN2at6native31max_unpooling3d_backward_kernelIN3c104HalfEEEvPKT_lllN5torch10headeronly6detail27GenericPackedTensorAccessorINS9_14TensorAccessorINS2_8ArrayRefIlEElLm3ENS8_16DefaultPtrTraitsElEENS_6detail16IndexBoundsCheckILm4ElEElLm4ESE_lEENSA_INSB_ISD_S4_Lm3ESE_lEESI_S4_Lm4ESE_lEEi.numbered_sgpr, 27
	.set _ZN2at6native31max_unpooling3d_backward_kernelIN3c104HalfEEEvPKT_lllN5torch10headeronly6detail27GenericPackedTensorAccessorINS9_14TensorAccessorINS2_8ArrayRefIlEElLm3ENS8_16DefaultPtrTraitsElEENS_6detail16IndexBoundsCheckILm4ElEElLm4ESE_lEENSA_INSB_ISD_S4_Lm3ESE_lEESI_S4_Lm4ESE_lEEi.num_named_barrier, 0
	.set _ZN2at6native31max_unpooling3d_backward_kernelIN3c104HalfEEEvPKT_lllN5torch10headeronly6detail27GenericPackedTensorAccessorINS9_14TensorAccessorINS2_8ArrayRefIlEElLm3ENS8_16DefaultPtrTraitsElEENS_6detail16IndexBoundsCheckILm4ElEElLm4ESE_lEENSA_INSB_ISD_S4_Lm3ESE_lEESI_S4_Lm4ESE_lEEi.private_seg_size, 0
	.set _ZN2at6native31max_unpooling3d_backward_kernelIN3c104HalfEEEvPKT_lllN5torch10headeronly6detail27GenericPackedTensorAccessorINS9_14TensorAccessorINS2_8ArrayRefIlEElLm3ENS8_16DefaultPtrTraitsElEENS_6detail16IndexBoundsCheckILm4ElEElLm4ESE_lEENSA_INSB_ISD_S4_Lm3ESE_lEESI_S4_Lm4ESE_lEEi.uses_vcc, 1
	.set _ZN2at6native31max_unpooling3d_backward_kernelIN3c104HalfEEEvPKT_lllN5torch10headeronly6detail27GenericPackedTensorAccessorINS9_14TensorAccessorINS2_8ArrayRefIlEElLm3ENS8_16DefaultPtrTraitsElEENS_6detail16IndexBoundsCheckILm4ElEElLm4ESE_lEENSA_INSB_ISD_S4_Lm3ESE_lEESI_S4_Lm4ESE_lEEi.uses_flat_scratch, 0
	.set _ZN2at6native31max_unpooling3d_backward_kernelIN3c104HalfEEEvPKT_lllN5torch10headeronly6detail27GenericPackedTensorAccessorINS9_14TensorAccessorINS2_8ArrayRefIlEElLm3ENS8_16DefaultPtrTraitsElEENS_6detail16IndexBoundsCheckILm4ElEElLm4ESE_lEENSA_INSB_ISD_S4_Lm3ESE_lEESI_S4_Lm4ESE_lEEi.has_dyn_sized_stack, 0
	.set _ZN2at6native31max_unpooling3d_backward_kernelIN3c104HalfEEEvPKT_lllN5torch10headeronly6detail27GenericPackedTensorAccessorINS9_14TensorAccessorINS2_8ArrayRefIlEElLm3ENS8_16DefaultPtrTraitsElEENS_6detail16IndexBoundsCheckILm4ElEElLm4ESE_lEENSA_INSB_ISD_S4_Lm3ESE_lEESI_S4_Lm4ESE_lEEi.has_recursion, 0
	.set _ZN2at6native31max_unpooling3d_backward_kernelIN3c104HalfEEEvPKT_lllN5torch10headeronly6detail27GenericPackedTensorAccessorINS9_14TensorAccessorINS2_8ArrayRefIlEElLm3ENS8_16DefaultPtrTraitsElEENS_6detail16IndexBoundsCheckILm4ElEElLm4ESE_lEENSA_INSB_ISD_S4_Lm3ESE_lEESI_S4_Lm4ESE_lEEi.has_indirect_call, 0
	.section	.AMDGPU.csdata,"",@progbits
; Kernel info:
; codeLenInByte = 1348
; TotalNumSgprs: 31
; NumVgprs: 12
; ScratchSize: 0
; MemoryBound: 0
; FloatMode: 240
; IeeeMode: 1
; LDSByteSize: 0 bytes/workgroup (compile time only)
; SGPRBlocks: 3
; VGPRBlocks: 2
; NumSGPRsForWavesPerEU: 31
; NumVGPRsForWavesPerEU: 12
; Occupancy: 10
; WaveLimiterHint : 1
; COMPUTE_PGM_RSRC2:SCRATCH_EN: 0
; COMPUTE_PGM_RSRC2:USER_SGPR: 6
; COMPUTE_PGM_RSRC2:TRAP_HANDLER: 0
; COMPUTE_PGM_RSRC2:TGID_X_EN: 1
; COMPUTE_PGM_RSRC2:TGID_Y_EN: 1
; COMPUTE_PGM_RSRC2:TGID_Z_EN: 1
; COMPUTE_PGM_RSRC2:TIDIG_COMP_CNT: 1
	.section	.text._ZN2at6native31max_unpooling3d_backward_kernelIN3c108BFloat16EEEvPKT_lllN5torch10headeronly6detail27GenericPackedTensorAccessorINS9_14TensorAccessorINS2_8ArrayRefIlEElLm3ENS8_16DefaultPtrTraitsElEENS_6detail16IndexBoundsCheckILm4ElEElLm4ESE_lEENSA_INSB_ISD_S4_Lm3ESE_lEESI_S4_Lm4ESE_lEEi,"axG",@progbits,_ZN2at6native31max_unpooling3d_backward_kernelIN3c108BFloat16EEEvPKT_lllN5torch10headeronly6detail27GenericPackedTensorAccessorINS9_14TensorAccessorINS2_8ArrayRefIlEElLm3ENS8_16DefaultPtrTraitsElEENS_6detail16IndexBoundsCheckILm4ElEElLm4ESE_lEENSA_INSB_ISD_S4_Lm3ESE_lEESI_S4_Lm4ESE_lEEi,comdat
	.protected	_ZN2at6native31max_unpooling3d_backward_kernelIN3c108BFloat16EEEvPKT_lllN5torch10headeronly6detail27GenericPackedTensorAccessorINS9_14TensorAccessorINS2_8ArrayRefIlEElLm3ENS8_16DefaultPtrTraitsElEENS_6detail16IndexBoundsCheckILm4ElEElLm4ESE_lEENSA_INSB_ISD_S4_Lm3ESE_lEESI_S4_Lm4ESE_lEEi ; -- Begin function _ZN2at6native31max_unpooling3d_backward_kernelIN3c108BFloat16EEEvPKT_lllN5torch10headeronly6detail27GenericPackedTensorAccessorINS9_14TensorAccessorINS2_8ArrayRefIlEElLm3ENS8_16DefaultPtrTraitsElEENS_6detail16IndexBoundsCheckILm4ElEElLm4ESE_lEENSA_INSB_ISD_S4_Lm3ESE_lEESI_S4_Lm4ESE_lEEi
	.globl	_ZN2at6native31max_unpooling3d_backward_kernelIN3c108BFloat16EEEvPKT_lllN5torch10headeronly6detail27GenericPackedTensorAccessorINS9_14TensorAccessorINS2_8ArrayRefIlEElLm3ENS8_16DefaultPtrTraitsElEENS_6detail16IndexBoundsCheckILm4ElEElLm4ESE_lEENSA_INSB_ISD_S4_Lm3ESE_lEESI_S4_Lm4ESE_lEEi
	.p2align	8
	.type	_ZN2at6native31max_unpooling3d_backward_kernelIN3c108BFloat16EEEvPKT_lllN5torch10headeronly6detail27GenericPackedTensorAccessorINS9_14TensorAccessorINS2_8ArrayRefIlEElLm3ENS8_16DefaultPtrTraitsElEENS_6detail16IndexBoundsCheckILm4ElEElLm4ESE_lEENSA_INSB_ISD_S4_Lm3ESE_lEESI_S4_Lm4ESE_lEEi,@function
_ZN2at6native31max_unpooling3d_backward_kernelIN3c108BFloat16EEEvPKT_lllN5torch10headeronly6detail27GenericPackedTensorAccessorINS9_14TensorAccessorINS2_8ArrayRefIlEElLm3ENS8_16DefaultPtrTraitsElEENS_6detail16IndexBoundsCheckILm4ElEElLm4ESE_lEENSA_INSB_ISD_S4_Lm3ESE_lEESI_S4_Lm4ESE_lEEi: ; @_ZN2at6native31max_unpooling3d_backward_kernelIN3c108BFloat16EEEvPKT_lllN5torch10headeronly6detail27GenericPackedTensorAccessorINS9_14TensorAccessorINS2_8ArrayRefIlEElLm3ENS8_16DefaultPtrTraitsElEENS_6detail16IndexBoundsCheckILm4ElEElLm4ESE_lEENSA_INSB_ISD_S4_Lm3ESE_lEESI_S4_Lm4ESE_lEEi
; %bb.0:
	s_load_dword s9, s[4:5], 0xb0
	s_load_dwordx2 s[0:1], s[4:5], 0x78
	s_load_dword s14, s[4:5], 0xc4
	s_add_u32 s2, s4, 0xb8
	s_addc_u32 s3, s5, 0
	s_waitcnt lgkmcnt(0)
	s_add_i32 s18, s9, s8
	s_mov_b32 s8, 0
	s_mov_b32 s9, s1
	s_cmp_lg_u64 s[8:9], 0
	s_cbranch_scc0 .LBB35_7
; %bb.1:
	s_ashr_i32 s10, s1, 31
	s_add_u32 s8, s0, s10
	s_mov_b32 s11, s10
	s_addc_u32 s9, s1, s10
	s_xor_b64 s[12:13], s[8:9], s[10:11]
	v_cvt_f32_u32_e32 v2, s12
	v_cvt_f32_u32_e32 v3, s13
	s_sub_u32 s1, 0, s12
	s_subb_u32 s15, 0, s13
	v_madmk_f32 v2, v3, 0x4f800000, v2
	v_rcp_f32_e32 v2, v2
	v_mul_f32_e32 v2, 0x5f7ffffc, v2
	v_mul_f32_e32 v3, 0x2f800000, v2
	v_trunc_f32_e32 v3, v3
	v_madmk_f32 v2, v3, 0xcf800000, v2
	v_cvt_u32_f32_e32 v3, v3
	v_cvt_u32_f32_e32 v2, v2
	v_readfirstlane_b32 s19, v3
	v_readfirstlane_b32 s16, v2
	s_mul_i32 s17, s1, s19
	s_mul_hi_u32 s21, s1, s16
	s_mul_i32 s20, s15, s16
	s_add_i32 s17, s21, s17
	s_add_i32 s17, s17, s20
	s_mul_i32 s22, s1, s16
	s_mul_i32 s21, s16, s17
	s_mul_hi_u32 s23, s16, s22
	s_mul_hi_u32 s20, s16, s17
	s_add_u32 s21, s23, s21
	s_addc_u32 s20, 0, s20
	s_mul_hi_u32 s24, s19, s22
	s_mul_i32 s22, s19, s22
	s_add_u32 s21, s21, s22
	s_mul_hi_u32 s23, s19, s17
	s_addc_u32 s20, s20, s24
	s_addc_u32 s21, s23, 0
	s_mul_i32 s17, s19, s17
	s_add_u32 s17, s20, s17
	s_addc_u32 s20, 0, s21
	s_add_u32 s21, s16, s17
	s_cselect_b64 s[16:17], -1, 0
	s_cmp_lg_u64 s[16:17], 0
	s_addc_u32 s19, s19, s20
	s_mul_i32 s16, s1, s19
	s_mul_hi_u32 s17, s1, s21
	s_add_i32 s16, s17, s16
	s_mul_i32 s15, s15, s21
	s_add_i32 s16, s16, s15
	s_mul_i32 s1, s1, s21
	s_mul_hi_u32 s17, s19, s1
	s_mul_i32 s20, s19, s1
	s_mul_i32 s23, s21, s16
	s_mul_hi_u32 s1, s21, s1
	s_mul_hi_u32 s22, s21, s16
	s_add_u32 s1, s1, s23
	s_addc_u32 s22, 0, s22
	s_add_u32 s1, s1, s20
	s_mul_hi_u32 s15, s19, s16
	s_addc_u32 s1, s22, s17
	s_addc_u32 s15, s15, 0
	s_mul_i32 s16, s19, s16
	s_add_u32 s1, s1, s16
	s_addc_u32 s15, 0, s15
	s_add_u32 s1, s21, s1
	s_cselect_b64 s[16:17], -1, 0
	s_cmp_lg_u64 s[16:17], 0
	s_addc_u32 s15, s19, s15
	s_add_u32 s16, s18, 0
	s_addc_u32 s17, 0, 0
	s_xor_b64 s[16:17], s[16:17], 0
	s_mul_i32 s20, s16, s15
	s_mul_hi_u32 s21, s16, s1
	s_mul_hi_u32 s19, s16, s15
	s_add_u32 s20, s21, s20
	s_addc_u32 s19, 0, s19
	s_mul_hi_u32 s22, s17, s1
	s_mul_i32 s1, s17, s1
	s_add_u32 s1, s20, s1
	s_mul_hi_u32 s21, s17, s15
	s_addc_u32 s1, s19, s22
	s_addc_u32 s19, s21, 0
	s_mul_i32 s15, s17, s15
	s_add_u32 s1, s1, s15
	s_addc_u32 s15, 0, s19
	s_mul_i32 s19, s12, s15
	s_mul_hi_u32 s20, s12, s1
	s_add_i32 s19, s20, s19
	s_mul_i32 s20, s13, s1
	s_add_i32 s19, s19, s20
	s_sub_i32 s22, s17, s19
	s_mul_i32 s20, s12, s1
	s_sub_u32 s16, s16, s20
	s_cselect_b64 s[20:21], -1, 0
	s_cmp_lg_u64 s[20:21], 0
	s_subb_u32 s24, s22, s13
	s_sub_u32 s25, s16, s12
	s_cselect_b64 s[22:23], -1, 0
	s_cmp_lg_u64 s[22:23], 0
	s_subb_u32 s22, s24, 0
	s_cmp_ge_u32 s22, s13
	s_cselect_b32 s23, -1, 0
	s_cmp_ge_u32 s25, s12
	s_cselect_b32 s24, -1, 0
	s_cmp_eq_u32 s22, s13
	s_cselect_b32 s22, s24, s23
	s_add_u32 s23, s1, 1
	s_addc_u32 s24, s15, 0
	s_add_u32 s25, s1, 2
	s_addc_u32 s26, s15, 0
	s_cmp_lg_u32 s22, 0
	s_cselect_b32 s22, s25, s23
	s_cselect_b32 s23, s26, s24
	s_cmp_lg_u64 s[20:21], 0
	s_subb_u32 s17, s17, s19
	s_cmp_ge_u32 s17, s13
	s_cselect_b32 s19, -1, 0
	s_cmp_ge_u32 s16, s12
	s_cselect_b32 s12, -1, 0
	s_cmp_eq_u32 s17, s13
	s_cselect_b32 s12, s12, s19
	s_cmp_lg_u32 s12, 0
	s_cselect_b32 s13, s23, s15
	s_cselect_b32 s12, s22, s1
	s_xor_b64 s[10:11], 0, s[10:11]
	s_xor_b64 s[12:13], s[12:13], s[10:11]
	s_sub_u32 s16, s12, s10
	s_subb_u32 s17, s13, s11
	s_lshr_b32 s1, s14, 16
	s_cbranch_execnz .LBB35_3
.LBB35_2:
	v_cvt_f32_u32_e32 v2, s0
	s_sub_i32 s8, 0, s0
	s_mov_b32 s17, 0
	v_rcp_iflag_f32_e32 v2, v2
	v_mul_f32_e32 v2, 0x4f7ffffe, v2
	v_cvt_u32_f32_e32 v2, v2
	v_readfirstlane_b32 s9, v2
	s_mul_i32 s8, s8, s9
	s_mul_hi_u32 s8, s9, s8
	s_add_i32 s9, s9, s8
	s_mul_hi_u32 s8, s18, s9
	s_mul_i32 s10, s8, s0
	s_sub_i32 s10, s18, s10
	s_add_i32 s9, s8, 1
	s_sub_i32 s11, s10, s0
	s_cmp_ge_u32 s10, s0
	s_cselect_b32 s8, s9, s8
	s_cselect_b32 s10, s11, s10
	s_add_i32 s9, s8, 1
	s_cmp_ge_u32 s10, s0
	s_cselect_b32 s16, s9, s8
.LBB35_3:
	s_load_dwordx2 s[8:9], s[4:5], 0x80
	s_and_b32 s1, 0xffff, s1
	s_mul_i32 s7, s7, s1
	v_add_u32_e32 v1, s7, v1
	v_ashrrev_i32_e32 v2, 31, v1
	s_waitcnt lgkmcnt(0)
	v_cmp_gt_i64_e32 vcc, s[8:9], v[1:2]
	s_and_saveexec_b64 s[8:9], vcc
	s_cbranch_execz .LBB35_6
; %bb.4:
	s_load_dword s1, s[2:3], 0xc
	s_load_dwordx2 s[8:9], s[4:5], 0x88
	s_waitcnt lgkmcnt(0)
	s_and_b32 s1, s1, 0xffff
	s_mul_i32 s6, s6, s1
	v_add_u32_e32 v3, s6, v0
	v_ashrrev_i32_e32 v4, 31, v3
	v_cmp_gt_i64_e32 vcc, s[8:9], v[3:4]
	s_and_b64 exec, exec, vcc
	s_cbranch_execz .LBB35_6
; %bb.5:
	s_load_dwordx8 s[8:15], s[4:5], 0x48
	s_mul_i32 s6, s16, s0
	s_load_dwordx2 s[2:3], s[4:5], 0x20
	s_bfe_i64 s[0:1], s[16:17], 0x200000
	s_sub_i32 s17, s18, s6
	s_waitcnt lgkmcnt(0)
	s_mul_i32 s0, s8, s1
	s_mul_hi_u32 s6, s8, s16
	s_add_i32 s0, s6, s0
	s_mul_i32 s6, s9, s16
	s_add_i32 s7, s0, s6
	s_mul_i32 s6, s8, s16
	s_lshl_b64 s[6:7], s[6:7], 3
	s_add_u32 s0, s2, s6
	s_addc_u32 s8, s3, s7
	s_ashr_i32 s18, s17, 31
	s_mul_i32 s2, s10, s18
	s_mul_hi_u32 s3, s10, s17
	s_add_i32 s2, s3, s2
	s_mul_i32 s3, s11, s17
	s_add_i32 s3, s2, s3
	s_mul_i32 s2, s10, s17
	v_mul_lo_u32 v0, s13, v1
	v_mul_lo_u32 v7, s12, v2
	v_mad_u64_u32 v[5:6], s[6:7], s12, v1, 0
	s_lshl_b64 s[2:3], s[2:3], 3
	s_add_u32 s0, s0, s2
	s_addc_u32 s2, s8, s3
	v_add3_u32 v6, v6, v7, v0
	v_mov_b32_e32 v0, s2
	v_mul_lo_u32 v9, s15, v3
	v_mul_lo_u32 v10, s14, v4
	v_mad_u64_u32 v[7:8], s[2:3], s14, v3, 0
	v_lshlrev_b64 v[5:6], 3, v[5:6]
	s_load_dwordx8 s[8:15], s[4:5], 0x0
	v_add_co_u32_e32 v11, vcc, s0, v5
	v_add3_u32 v8, v8, v10, v9
	v_addc_co_u32_e32 v0, vcc, v0, v6, vcc
	v_lshlrev_b64 v[5:6], 3, v[7:8]
	s_waitcnt lgkmcnt(0)
	s_mul_i32 s0, s12, s11
	v_add_co_u32_e32 v5, vcc, v11, v5
	v_addc_co_u32_e32 v6, vcc, v0, v6, vcc
	global_load_dwordx2 v[5:6], v[5:6], off
	s_mul_hi_u32 s3, s12, s10
	s_mul_i32 s6, s13, s10
	s_mul_i32 s2, s12, s10
	s_add_i32 s0, s3, s0
	s_mul_i32 s7, s2, s15
	s_mul_hi_u32 s10, s2, s14
	s_add_i32 s0, s0, s6
	s_mul_i32 s2, s2, s14
	s_add_i32 s3, s10, s7
	s_mul_i32 s0, s0, s14
	s_mul_i32 s11, s2, s1
	s_mul_hi_u32 s12, s2, s16
	s_add_i32 s0, s3, s0
	s_add_i32 s7, s12, s11
	s_mul_i32 s0, s0, s16
	s_mul_i32 s2, s2, s16
	s_add_i32 s3, s7, s0
	s_lshl_b64 s[2:3], s[2:3], 1
	s_add_u32 s0, s8, s2
	s_addc_u32 s2, s9, s3
	v_mov_b32_e32 v0, s2
	s_waitcnt vmcnt(0)
	v_lshlrev_b64 v[5:6], 1, v[5:6]
	v_add_co_u32_e32 v5, vcc, s0, v5
	v_addc_co_u32_e32 v6, vcc, v0, v6, vcc
	global_load_ushort v5, v[5:6], off
	s_load_dwordx8 s[8:15], s[4:5], 0x90
	s_load_dwordx2 s[2:3], s[4:5], 0x68
	s_waitcnt lgkmcnt(0)
	s_mul_i32 s0, s8, s1
	s_mul_hi_u32 s1, s8, s16
	s_add_i32 s0, s1, s0
	s_mul_i32 s1, s9, s16
	s_add_i32 s1, s0, s1
	s_mul_i32 s0, s8, s16
	s_lshl_b64 s[0:1], s[0:1], 1
	s_add_u32 s4, s2, s0
	s_addc_u32 s5, s3, s1
	s_mul_i32 s0, s10, s18
	s_mul_hi_u32 s1, s10, s17
	s_add_i32 s0, s1, s0
	s_mul_i32 s1, s11, s17
	s_add_i32 s1, s0, s1
	s_mul_i32 s0, s10, s17
	v_mul_lo_u32 v6, s13, v1
	v_mul_lo_u32 v2, s12, v2
	v_mad_u64_u32 v[0:1], s[2:3], s12, v1, 0
	s_lshl_b64 s[0:1], s[0:1], 1
	s_add_u32 s2, s4, s0
	s_addc_u32 s0, s5, s1
	v_add3_u32 v1, v1, v2, v6
	v_mov_b32_e32 v6, s0
	v_mul_lo_u32 v7, s15, v3
	v_mul_lo_u32 v4, s14, v4
	v_mad_u64_u32 v[2:3], s[0:1], s14, v3, 0
	v_lshlrev_b64 v[0:1], 1, v[0:1]
	v_add_co_u32_e32 v8, vcc, s2, v0
	v_add3_u32 v3, v3, v4, v7
	v_addc_co_u32_e32 v6, vcc, v6, v1, vcc
	v_lshlrev_b64 v[0:1], 1, v[2:3]
	v_add_co_u32_e32 v0, vcc, v8, v0
	v_addc_co_u32_e32 v1, vcc, v6, v1, vcc
	s_waitcnt vmcnt(0)
	global_store_short v[0:1], v5, off
.LBB35_6:
	s_endpgm
.LBB35_7:
                                        ; implicit-def: $sgpr16_sgpr17
	s_lshr_b32 s1, s14, 16
	s_branch .LBB35_2
	.section	.rodata,"a",@progbits
	.p2align	6, 0x0
	.amdhsa_kernel _ZN2at6native31max_unpooling3d_backward_kernelIN3c108BFloat16EEEvPKT_lllN5torch10headeronly6detail27GenericPackedTensorAccessorINS9_14TensorAccessorINS2_8ArrayRefIlEElLm3ENS8_16DefaultPtrTraitsElEENS_6detail16IndexBoundsCheckILm4ElEElLm4ESE_lEENSA_INSB_ISD_S4_Lm3ESE_lEESI_S4_Lm4ESE_lEEi
		.amdhsa_group_segment_fixed_size 0
		.amdhsa_private_segment_fixed_size 0
		.amdhsa_kernarg_size 440
		.amdhsa_user_sgpr_count 6
		.amdhsa_user_sgpr_private_segment_buffer 1
		.amdhsa_user_sgpr_dispatch_ptr 0
		.amdhsa_user_sgpr_queue_ptr 0
		.amdhsa_user_sgpr_kernarg_segment_ptr 1
		.amdhsa_user_sgpr_dispatch_id 0
		.amdhsa_user_sgpr_flat_scratch_init 0
		.amdhsa_user_sgpr_private_segment_size 0
		.amdhsa_uses_dynamic_stack 0
		.amdhsa_system_sgpr_private_segment_wavefront_offset 0
		.amdhsa_system_sgpr_workgroup_id_x 1
		.amdhsa_system_sgpr_workgroup_id_y 1
		.amdhsa_system_sgpr_workgroup_id_z 1
		.amdhsa_system_sgpr_workgroup_info 0
		.amdhsa_system_vgpr_workitem_id 1
		.amdhsa_next_free_vgpr 12
		.amdhsa_next_free_sgpr 27
		.amdhsa_reserve_vcc 1
		.amdhsa_reserve_flat_scratch 0
		.amdhsa_float_round_mode_32 0
		.amdhsa_float_round_mode_16_64 0
		.amdhsa_float_denorm_mode_32 3
		.amdhsa_float_denorm_mode_16_64 3
		.amdhsa_dx10_clamp 1
		.amdhsa_ieee_mode 1
		.amdhsa_fp16_overflow 0
		.amdhsa_exception_fp_ieee_invalid_op 0
		.amdhsa_exception_fp_denorm_src 0
		.amdhsa_exception_fp_ieee_div_zero 0
		.amdhsa_exception_fp_ieee_overflow 0
		.amdhsa_exception_fp_ieee_underflow 0
		.amdhsa_exception_fp_ieee_inexact 0
		.amdhsa_exception_int_div_zero 0
	.end_amdhsa_kernel
	.section	.text._ZN2at6native31max_unpooling3d_backward_kernelIN3c108BFloat16EEEvPKT_lllN5torch10headeronly6detail27GenericPackedTensorAccessorINS9_14TensorAccessorINS2_8ArrayRefIlEElLm3ENS8_16DefaultPtrTraitsElEENS_6detail16IndexBoundsCheckILm4ElEElLm4ESE_lEENSA_INSB_ISD_S4_Lm3ESE_lEESI_S4_Lm4ESE_lEEi,"axG",@progbits,_ZN2at6native31max_unpooling3d_backward_kernelIN3c108BFloat16EEEvPKT_lllN5torch10headeronly6detail27GenericPackedTensorAccessorINS9_14TensorAccessorINS2_8ArrayRefIlEElLm3ENS8_16DefaultPtrTraitsElEENS_6detail16IndexBoundsCheckILm4ElEElLm4ESE_lEENSA_INSB_ISD_S4_Lm3ESE_lEESI_S4_Lm4ESE_lEEi,comdat
.Lfunc_end35:
	.size	_ZN2at6native31max_unpooling3d_backward_kernelIN3c108BFloat16EEEvPKT_lllN5torch10headeronly6detail27GenericPackedTensorAccessorINS9_14TensorAccessorINS2_8ArrayRefIlEElLm3ENS8_16DefaultPtrTraitsElEENS_6detail16IndexBoundsCheckILm4ElEElLm4ESE_lEENSA_INSB_ISD_S4_Lm3ESE_lEESI_S4_Lm4ESE_lEEi, .Lfunc_end35-_ZN2at6native31max_unpooling3d_backward_kernelIN3c108BFloat16EEEvPKT_lllN5torch10headeronly6detail27GenericPackedTensorAccessorINS9_14TensorAccessorINS2_8ArrayRefIlEElLm3ENS8_16DefaultPtrTraitsElEENS_6detail16IndexBoundsCheckILm4ElEElLm4ESE_lEENSA_INSB_ISD_S4_Lm3ESE_lEESI_S4_Lm4ESE_lEEi
                                        ; -- End function
	.set _ZN2at6native31max_unpooling3d_backward_kernelIN3c108BFloat16EEEvPKT_lllN5torch10headeronly6detail27GenericPackedTensorAccessorINS9_14TensorAccessorINS2_8ArrayRefIlEElLm3ENS8_16DefaultPtrTraitsElEENS_6detail16IndexBoundsCheckILm4ElEElLm4ESE_lEENSA_INSB_ISD_S4_Lm3ESE_lEESI_S4_Lm4ESE_lEEi.num_vgpr, 12
	.set _ZN2at6native31max_unpooling3d_backward_kernelIN3c108BFloat16EEEvPKT_lllN5torch10headeronly6detail27GenericPackedTensorAccessorINS9_14TensorAccessorINS2_8ArrayRefIlEElLm3ENS8_16DefaultPtrTraitsElEENS_6detail16IndexBoundsCheckILm4ElEElLm4ESE_lEENSA_INSB_ISD_S4_Lm3ESE_lEESI_S4_Lm4ESE_lEEi.num_agpr, 0
	.set _ZN2at6native31max_unpooling3d_backward_kernelIN3c108BFloat16EEEvPKT_lllN5torch10headeronly6detail27GenericPackedTensorAccessorINS9_14TensorAccessorINS2_8ArrayRefIlEElLm3ENS8_16DefaultPtrTraitsElEENS_6detail16IndexBoundsCheckILm4ElEElLm4ESE_lEENSA_INSB_ISD_S4_Lm3ESE_lEESI_S4_Lm4ESE_lEEi.numbered_sgpr, 27
	.set _ZN2at6native31max_unpooling3d_backward_kernelIN3c108BFloat16EEEvPKT_lllN5torch10headeronly6detail27GenericPackedTensorAccessorINS9_14TensorAccessorINS2_8ArrayRefIlEElLm3ENS8_16DefaultPtrTraitsElEENS_6detail16IndexBoundsCheckILm4ElEElLm4ESE_lEENSA_INSB_ISD_S4_Lm3ESE_lEESI_S4_Lm4ESE_lEEi.num_named_barrier, 0
	.set _ZN2at6native31max_unpooling3d_backward_kernelIN3c108BFloat16EEEvPKT_lllN5torch10headeronly6detail27GenericPackedTensorAccessorINS9_14TensorAccessorINS2_8ArrayRefIlEElLm3ENS8_16DefaultPtrTraitsElEENS_6detail16IndexBoundsCheckILm4ElEElLm4ESE_lEENSA_INSB_ISD_S4_Lm3ESE_lEESI_S4_Lm4ESE_lEEi.private_seg_size, 0
	.set _ZN2at6native31max_unpooling3d_backward_kernelIN3c108BFloat16EEEvPKT_lllN5torch10headeronly6detail27GenericPackedTensorAccessorINS9_14TensorAccessorINS2_8ArrayRefIlEElLm3ENS8_16DefaultPtrTraitsElEENS_6detail16IndexBoundsCheckILm4ElEElLm4ESE_lEENSA_INSB_ISD_S4_Lm3ESE_lEESI_S4_Lm4ESE_lEEi.uses_vcc, 1
	.set _ZN2at6native31max_unpooling3d_backward_kernelIN3c108BFloat16EEEvPKT_lllN5torch10headeronly6detail27GenericPackedTensorAccessorINS9_14TensorAccessorINS2_8ArrayRefIlEElLm3ENS8_16DefaultPtrTraitsElEENS_6detail16IndexBoundsCheckILm4ElEElLm4ESE_lEENSA_INSB_ISD_S4_Lm3ESE_lEESI_S4_Lm4ESE_lEEi.uses_flat_scratch, 0
	.set _ZN2at6native31max_unpooling3d_backward_kernelIN3c108BFloat16EEEvPKT_lllN5torch10headeronly6detail27GenericPackedTensorAccessorINS9_14TensorAccessorINS2_8ArrayRefIlEElLm3ENS8_16DefaultPtrTraitsElEENS_6detail16IndexBoundsCheckILm4ElEElLm4ESE_lEENSA_INSB_ISD_S4_Lm3ESE_lEESI_S4_Lm4ESE_lEEi.has_dyn_sized_stack, 0
	.set _ZN2at6native31max_unpooling3d_backward_kernelIN3c108BFloat16EEEvPKT_lllN5torch10headeronly6detail27GenericPackedTensorAccessorINS9_14TensorAccessorINS2_8ArrayRefIlEElLm3ENS8_16DefaultPtrTraitsElEENS_6detail16IndexBoundsCheckILm4ElEElLm4ESE_lEENSA_INSB_ISD_S4_Lm3ESE_lEESI_S4_Lm4ESE_lEEi.has_recursion, 0
	.set _ZN2at6native31max_unpooling3d_backward_kernelIN3c108BFloat16EEEvPKT_lllN5torch10headeronly6detail27GenericPackedTensorAccessorINS9_14TensorAccessorINS2_8ArrayRefIlEElLm3ENS8_16DefaultPtrTraitsElEENS_6detail16IndexBoundsCheckILm4ElEElLm4ESE_lEENSA_INSB_ISD_S4_Lm3ESE_lEESI_S4_Lm4ESE_lEEi.has_indirect_call, 0
	.section	.AMDGPU.csdata,"",@progbits
; Kernel info:
; codeLenInByte = 1348
; TotalNumSgprs: 31
; NumVgprs: 12
; ScratchSize: 0
; MemoryBound: 0
; FloatMode: 240
; IeeeMode: 1
; LDSByteSize: 0 bytes/workgroup (compile time only)
; SGPRBlocks: 3
; VGPRBlocks: 2
; NumSGPRsForWavesPerEU: 31
; NumVGPRsForWavesPerEU: 12
; Occupancy: 10
; WaveLimiterHint : 1
; COMPUTE_PGM_RSRC2:SCRATCH_EN: 0
; COMPUTE_PGM_RSRC2:USER_SGPR: 6
; COMPUTE_PGM_RSRC2:TRAP_HANDLER: 0
; COMPUTE_PGM_RSRC2:TGID_X_EN: 1
; COMPUTE_PGM_RSRC2:TGID_Y_EN: 1
; COMPUTE_PGM_RSRC2:TGID_Z_EN: 1
; COMPUTE_PGM_RSRC2:TIDIG_COMP_CNT: 1
	.section	.AMDGPU.gpr_maximums,"",@progbits
	.set amdgpu.max_num_vgpr, 0
	.set amdgpu.max_num_agpr, 0
	.set amdgpu.max_num_sgpr, 0
	.section	.AMDGPU.csdata,"",@progbits
	.type	__hip_cuid_81a00983d4b8a4ce,@object ; @__hip_cuid_81a00983d4b8a4ce
	.section	.bss,"aw",@nobits
	.globl	__hip_cuid_81a00983d4b8a4ce
__hip_cuid_81a00983d4b8a4ce:
	.byte	0                               ; 0x0
	.size	__hip_cuid_81a00983d4b8a4ce, 1

	.ident	"AMD clang version 22.0.0git (https://github.com/RadeonOpenCompute/llvm-project roc-7.2.4 26084 f58b06dce1f9c15707c5f808fd002e18c2accf7e)"
	.section	".note.GNU-stack","",@progbits
	.addrsig
	.addrsig_sym __hip_cuid_81a00983d4b8a4ce
	.amdgpu_metadata
---
amdhsa.kernels:
  - .args:
      - .offset:         0
        .size:           8
        .value_kind:     by_value
      - .address_space:  global
        .offset:         8
        .size:           8
        .value_kind:     global_buffer
      - .address_space:  global
        .offset:         16
        .size:           8
        .value_kind:     global_buffer
      - .offset:         24
        .size:           8
        .value_kind:     by_value
      - .offset:         32
        .size:           8
        .value_kind:     by_value
      - .offset:         40
        .size:           8
        .value_kind:     by_value
      - .offset:         48
        .size:           8
        .value_kind:     by_value
      - .offset:         56
        .size:           8
        .value_kind:     by_value
      - .address_space:  global
        .offset:         64
        .size:           8
        .value_kind:     global_buffer
      - .offset:         72
        .size:           4
        .value_kind:     hidden_block_count_x
      - .offset:         76
        .size:           4
        .value_kind:     hidden_block_count_y
      - .offset:         80
        .size:           4
        .value_kind:     hidden_block_count_z
      - .offset:         84
        .size:           2
        .value_kind:     hidden_group_size_x
      - .offset:         86
        .size:           2
        .value_kind:     hidden_group_size_y
      - .offset:         88
        .size:           2
        .value_kind:     hidden_group_size_z
      - .offset:         90
        .size:           2
        .value_kind:     hidden_remainder_x
      - .offset:         92
        .size:           2
        .value_kind:     hidden_remainder_y
      - .offset:         94
        .size:           2
        .value_kind:     hidden_remainder_z
      - .offset:         112
        .size:           8
        .value_kind:     hidden_global_offset_x
      - .offset:         120
        .size:           8
        .value_kind:     hidden_global_offset_y
      - .offset:         128
        .size:           8
        .value_kind:     hidden_global_offset_z
      - .offset:         136
        .size:           2
        .value_kind:     hidden_grid_dims
    .group_segment_fixed_size: 0
    .kernarg_segment_align: 8
    .kernarg_segment_size: 328
    .language:       OpenCL C
    .language_version:
      - 2
      - 0
    .max_flat_workgroup_size: 1024
    .name:           _ZN2at6native30max_unpooling2d_forward_kernelIhEEvlPKT_PKllllllPS2_
    .private_segment_fixed_size: 0
    .sgpr_count:     46
    .sgpr_spill_count: 0
    .symbol:         _ZN2at6native30max_unpooling2d_forward_kernelIhEEvlPKT_PKllllllPS2_.kd
    .uniform_work_group_size: 1
    .uses_dynamic_stack: false
    .vgpr_count:     22
    .vgpr_spill_count: 0
    .wavefront_size: 64
  - .args:
      - .offset:         0
        .size:           8
        .value_kind:     by_value
      - .address_space:  global
        .offset:         8
        .size:           8
        .value_kind:     global_buffer
      - .address_space:  global
        .offset:         16
        .size:           8
        .value_kind:     global_buffer
      - .offset:         24
        .size:           8
        .value_kind:     by_value
      - .offset:         32
        .size:           8
        .value_kind:     by_value
      - .offset:         40
        .size:           8
        .value_kind:     by_value
      - .offset:         48
        .size:           8
        .value_kind:     by_value
      - .offset:         56
        .size:           8
        .value_kind:     by_value
      - .address_space:  global
        .offset:         64
        .size:           8
        .value_kind:     global_buffer
      - .offset:         72
        .size:           4
        .value_kind:     hidden_block_count_x
      - .offset:         76
        .size:           4
        .value_kind:     hidden_block_count_y
      - .offset:         80
        .size:           4
        .value_kind:     hidden_block_count_z
      - .offset:         84
        .size:           2
        .value_kind:     hidden_group_size_x
      - .offset:         86
        .size:           2
        .value_kind:     hidden_group_size_y
      - .offset:         88
        .size:           2
        .value_kind:     hidden_group_size_z
      - .offset:         90
        .size:           2
        .value_kind:     hidden_remainder_x
      - .offset:         92
        .size:           2
        .value_kind:     hidden_remainder_y
      - .offset:         94
        .size:           2
        .value_kind:     hidden_remainder_z
      - .offset:         112
        .size:           8
        .value_kind:     hidden_global_offset_x
      - .offset:         120
        .size:           8
        .value_kind:     hidden_global_offset_y
      - .offset:         128
        .size:           8
        .value_kind:     hidden_global_offset_z
      - .offset:         136
        .size:           2
        .value_kind:     hidden_grid_dims
    .group_segment_fixed_size: 0
    .kernarg_segment_align: 8
    .kernarg_segment_size: 328
    .language:       OpenCL C
    .language_version:
      - 2
      - 0
    .max_flat_workgroup_size: 1024
    .name:           _ZN2at6native30max_unpooling2d_forward_kernelIaEEvlPKT_PKllllllPS2_
    .private_segment_fixed_size: 0
    .sgpr_count:     46
    .sgpr_spill_count: 0
    .symbol:         _ZN2at6native30max_unpooling2d_forward_kernelIaEEvlPKT_PKllllllPS2_.kd
    .uniform_work_group_size: 1
    .uses_dynamic_stack: false
    .vgpr_count:     22
    .vgpr_spill_count: 0
    .wavefront_size: 64
  - .args:
      - .offset:         0
        .size:           8
        .value_kind:     by_value
      - .address_space:  global
        .offset:         8
        .size:           8
        .value_kind:     global_buffer
      - .address_space:  global
        .offset:         16
        .size:           8
        .value_kind:     global_buffer
      - .offset:         24
        .size:           8
        .value_kind:     by_value
      - .offset:         32
        .size:           8
        .value_kind:     by_value
      - .offset:         40
        .size:           8
        .value_kind:     by_value
      - .offset:         48
        .size:           8
        .value_kind:     by_value
      - .offset:         56
        .size:           8
        .value_kind:     by_value
      - .address_space:  global
        .offset:         64
        .size:           8
        .value_kind:     global_buffer
      - .offset:         72
        .size:           4
        .value_kind:     hidden_block_count_x
      - .offset:         76
        .size:           4
        .value_kind:     hidden_block_count_y
      - .offset:         80
        .size:           4
        .value_kind:     hidden_block_count_z
      - .offset:         84
        .size:           2
        .value_kind:     hidden_group_size_x
      - .offset:         86
        .size:           2
        .value_kind:     hidden_group_size_y
      - .offset:         88
        .size:           2
        .value_kind:     hidden_group_size_z
      - .offset:         90
        .size:           2
        .value_kind:     hidden_remainder_x
      - .offset:         92
        .size:           2
        .value_kind:     hidden_remainder_y
      - .offset:         94
        .size:           2
        .value_kind:     hidden_remainder_z
      - .offset:         112
        .size:           8
        .value_kind:     hidden_global_offset_x
      - .offset:         120
        .size:           8
        .value_kind:     hidden_global_offset_y
      - .offset:         128
        .size:           8
        .value_kind:     hidden_global_offset_z
      - .offset:         136
        .size:           2
        .value_kind:     hidden_grid_dims
    .group_segment_fixed_size: 0
    .kernarg_segment_align: 8
    .kernarg_segment_size: 328
    .language:       OpenCL C
    .language_version:
      - 2
      - 0
    .max_flat_workgroup_size: 1024
    .name:           _ZN2at6native30max_unpooling2d_forward_kernelIiEEvlPKT_PKllllllPS2_
    .private_segment_fixed_size: 0
    .sgpr_count:     46
    .sgpr_spill_count: 0
    .symbol:         _ZN2at6native30max_unpooling2d_forward_kernelIiEEvlPKT_PKllllllPS2_.kd
    .uniform_work_group_size: 1
    .uses_dynamic_stack: false
    .vgpr_count:     23
    .vgpr_spill_count: 0
    .wavefront_size: 64
  - .args:
      - .offset:         0
        .size:           8
        .value_kind:     by_value
      - .address_space:  global
        .offset:         8
        .size:           8
        .value_kind:     global_buffer
      - .address_space:  global
        .offset:         16
        .size:           8
        .value_kind:     global_buffer
      - .offset:         24
        .size:           8
        .value_kind:     by_value
      - .offset:         32
        .size:           8
        .value_kind:     by_value
      - .offset:         40
        .size:           8
        .value_kind:     by_value
      - .offset:         48
        .size:           8
        .value_kind:     by_value
      - .offset:         56
        .size:           8
        .value_kind:     by_value
      - .address_space:  global
        .offset:         64
        .size:           8
        .value_kind:     global_buffer
      - .offset:         72
        .size:           4
        .value_kind:     hidden_block_count_x
      - .offset:         76
        .size:           4
        .value_kind:     hidden_block_count_y
      - .offset:         80
        .size:           4
        .value_kind:     hidden_block_count_z
      - .offset:         84
        .size:           2
        .value_kind:     hidden_group_size_x
      - .offset:         86
        .size:           2
        .value_kind:     hidden_group_size_y
      - .offset:         88
        .size:           2
        .value_kind:     hidden_group_size_z
      - .offset:         90
        .size:           2
        .value_kind:     hidden_remainder_x
      - .offset:         92
        .size:           2
        .value_kind:     hidden_remainder_y
      - .offset:         94
        .size:           2
        .value_kind:     hidden_remainder_z
      - .offset:         112
        .size:           8
        .value_kind:     hidden_global_offset_x
      - .offset:         120
        .size:           8
        .value_kind:     hidden_global_offset_y
      - .offset:         128
        .size:           8
        .value_kind:     hidden_global_offset_z
      - .offset:         136
        .size:           2
        .value_kind:     hidden_grid_dims
    .group_segment_fixed_size: 0
    .kernarg_segment_align: 8
    .kernarg_segment_size: 328
    .language:       OpenCL C
    .language_version:
      - 2
      - 0
    .max_flat_workgroup_size: 1024
    .name:           _ZN2at6native30max_unpooling2d_forward_kernelIlEEvlPKT_PKllllllPS2_
    .private_segment_fixed_size: 0
    .sgpr_count:     46
    .sgpr_spill_count: 0
    .symbol:         _ZN2at6native30max_unpooling2d_forward_kernelIlEEvlPKT_PKllllllPS2_.kd
    .uniform_work_group_size: 1
    .uses_dynamic_stack: false
    .vgpr_count:     23
    .vgpr_spill_count: 0
    .wavefront_size: 64
  - .args:
      - .offset:         0
        .size:           8
        .value_kind:     by_value
      - .address_space:  global
        .offset:         8
        .size:           8
        .value_kind:     global_buffer
      - .address_space:  global
        .offset:         16
        .size:           8
        .value_kind:     global_buffer
      - .offset:         24
        .size:           8
        .value_kind:     by_value
      - .offset:         32
        .size:           8
        .value_kind:     by_value
      - .offset:         40
        .size:           8
        .value_kind:     by_value
      - .offset:         48
        .size:           8
        .value_kind:     by_value
      - .offset:         56
        .size:           8
        .value_kind:     by_value
      - .address_space:  global
        .offset:         64
        .size:           8
        .value_kind:     global_buffer
      - .offset:         72
        .size:           4
        .value_kind:     hidden_block_count_x
      - .offset:         76
        .size:           4
        .value_kind:     hidden_block_count_y
      - .offset:         80
        .size:           4
        .value_kind:     hidden_block_count_z
      - .offset:         84
        .size:           2
        .value_kind:     hidden_group_size_x
      - .offset:         86
        .size:           2
        .value_kind:     hidden_group_size_y
      - .offset:         88
        .size:           2
        .value_kind:     hidden_group_size_z
      - .offset:         90
        .size:           2
        .value_kind:     hidden_remainder_x
      - .offset:         92
        .size:           2
        .value_kind:     hidden_remainder_y
      - .offset:         94
        .size:           2
        .value_kind:     hidden_remainder_z
      - .offset:         112
        .size:           8
        .value_kind:     hidden_global_offset_x
      - .offset:         120
        .size:           8
        .value_kind:     hidden_global_offset_y
      - .offset:         128
        .size:           8
        .value_kind:     hidden_global_offset_z
      - .offset:         136
        .size:           2
        .value_kind:     hidden_grid_dims
    .group_segment_fixed_size: 0
    .kernarg_segment_align: 8
    .kernarg_segment_size: 328
    .language:       OpenCL C
    .language_version:
      - 2
      - 0
    .max_flat_workgroup_size: 1024
    .name:           _ZN2at6native30max_unpooling2d_forward_kernelIsEEvlPKT_PKllllllPS2_
    .private_segment_fixed_size: 0
    .sgpr_count:     46
    .sgpr_spill_count: 0
    .symbol:         _ZN2at6native30max_unpooling2d_forward_kernelIsEEvlPKT_PKllllllPS2_.kd
    .uniform_work_group_size: 1
    .uses_dynamic_stack: false
    .vgpr_count:     23
    .vgpr_spill_count: 0
    .wavefront_size: 64
  - .args:
      - .offset:         0
        .size:           8
        .value_kind:     by_value
      - .address_space:  global
        .offset:         8
        .size:           8
        .value_kind:     global_buffer
      - .address_space:  global
        .offset:         16
        .size:           8
        .value_kind:     global_buffer
      - .offset:         24
        .size:           8
        .value_kind:     by_value
      - .offset:         32
        .size:           8
        .value_kind:     by_value
      - .offset:         40
        .size:           8
        .value_kind:     by_value
      - .offset:         48
        .size:           8
        .value_kind:     by_value
      - .offset:         56
        .size:           8
        .value_kind:     by_value
      - .address_space:  global
        .offset:         64
        .size:           8
        .value_kind:     global_buffer
      - .offset:         72
        .size:           4
        .value_kind:     hidden_block_count_x
      - .offset:         76
        .size:           4
        .value_kind:     hidden_block_count_y
      - .offset:         80
        .size:           4
        .value_kind:     hidden_block_count_z
      - .offset:         84
        .size:           2
        .value_kind:     hidden_group_size_x
      - .offset:         86
        .size:           2
        .value_kind:     hidden_group_size_y
      - .offset:         88
        .size:           2
        .value_kind:     hidden_group_size_z
      - .offset:         90
        .size:           2
        .value_kind:     hidden_remainder_x
      - .offset:         92
        .size:           2
        .value_kind:     hidden_remainder_y
      - .offset:         94
        .size:           2
        .value_kind:     hidden_remainder_z
      - .offset:         112
        .size:           8
        .value_kind:     hidden_global_offset_x
      - .offset:         120
        .size:           8
        .value_kind:     hidden_global_offset_y
      - .offset:         128
        .size:           8
        .value_kind:     hidden_global_offset_z
      - .offset:         136
        .size:           2
        .value_kind:     hidden_grid_dims
    .group_segment_fixed_size: 0
    .kernarg_segment_align: 8
    .kernarg_segment_size: 328
    .language:       OpenCL C
    .language_version:
      - 2
      - 0
    .max_flat_workgroup_size: 1024
    .name:           _ZN2at6native30max_unpooling2d_forward_kernelIdEEvlPKT_PKllllllPS2_
    .private_segment_fixed_size: 0
    .sgpr_count:     46
    .sgpr_spill_count: 0
    .symbol:         _ZN2at6native30max_unpooling2d_forward_kernelIdEEvlPKT_PKllllllPS2_.kd
    .uniform_work_group_size: 1
    .uses_dynamic_stack: false
    .vgpr_count:     23
    .vgpr_spill_count: 0
    .wavefront_size: 64
  - .args:
      - .offset:         0
        .size:           8
        .value_kind:     by_value
      - .address_space:  global
        .offset:         8
        .size:           8
        .value_kind:     global_buffer
      - .address_space:  global
        .offset:         16
        .size:           8
        .value_kind:     global_buffer
      - .offset:         24
        .size:           8
        .value_kind:     by_value
      - .offset:         32
        .size:           8
        .value_kind:     by_value
      - .offset:         40
        .size:           8
        .value_kind:     by_value
      - .offset:         48
        .size:           8
        .value_kind:     by_value
      - .offset:         56
        .size:           8
        .value_kind:     by_value
      - .address_space:  global
        .offset:         64
        .size:           8
        .value_kind:     global_buffer
      - .offset:         72
        .size:           4
        .value_kind:     hidden_block_count_x
      - .offset:         76
        .size:           4
        .value_kind:     hidden_block_count_y
      - .offset:         80
        .size:           4
        .value_kind:     hidden_block_count_z
      - .offset:         84
        .size:           2
        .value_kind:     hidden_group_size_x
      - .offset:         86
        .size:           2
        .value_kind:     hidden_group_size_y
      - .offset:         88
        .size:           2
        .value_kind:     hidden_group_size_z
      - .offset:         90
        .size:           2
        .value_kind:     hidden_remainder_x
      - .offset:         92
        .size:           2
        .value_kind:     hidden_remainder_y
      - .offset:         94
        .size:           2
        .value_kind:     hidden_remainder_z
      - .offset:         112
        .size:           8
        .value_kind:     hidden_global_offset_x
      - .offset:         120
        .size:           8
        .value_kind:     hidden_global_offset_y
      - .offset:         128
        .size:           8
        .value_kind:     hidden_global_offset_z
      - .offset:         136
        .size:           2
        .value_kind:     hidden_grid_dims
    .group_segment_fixed_size: 0
    .kernarg_segment_align: 8
    .kernarg_segment_size: 328
    .language:       OpenCL C
    .language_version:
      - 2
      - 0
    .max_flat_workgroup_size: 1024
    .name:           _ZN2at6native30max_unpooling2d_forward_kernelIfEEvlPKT_PKllllllPS2_
    .private_segment_fixed_size: 0
    .sgpr_count:     46
    .sgpr_spill_count: 0
    .symbol:         _ZN2at6native30max_unpooling2d_forward_kernelIfEEvlPKT_PKllllllPS2_.kd
    .uniform_work_group_size: 1
    .uses_dynamic_stack: false
    .vgpr_count:     23
    .vgpr_spill_count: 0
    .wavefront_size: 64
  - .args:
      - .offset:         0
        .size:           8
        .value_kind:     by_value
      - .address_space:  global
        .offset:         8
        .size:           8
        .value_kind:     global_buffer
      - .address_space:  global
        .offset:         16
        .size:           8
        .value_kind:     global_buffer
      - .offset:         24
        .size:           8
        .value_kind:     by_value
      - .offset:         32
        .size:           8
        .value_kind:     by_value
      - .offset:         40
        .size:           8
        .value_kind:     by_value
      - .offset:         48
        .size:           8
        .value_kind:     by_value
      - .offset:         56
        .size:           8
        .value_kind:     by_value
      - .address_space:  global
        .offset:         64
        .size:           8
        .value_kind:     global_buffer
      - .offset:         72
        .size:           4
        .value_kind:     hidden_block_count_x
      - .offset:         76
        .size:           4
        .value_kind:     hidden_block_count_y
      - .offset:         80
        .size:           4
        .value_kind:     hidden_block_count_z
      - .offset:         84
        .size:           2
        .value_kind:     hidden_group_size_x
      - .offset:         86
        .size:           2
        .value_kind:     hidden_group_size_y
      - .offset:         88
        .size:           2
        .value_kind:     hidden_group_size_z
      - .offset:         90
        .size:           2
        .value_kind:     hidden_remainder_x
      - .offset:         92
        .size:           2
        .value_kind:     hidden_remainder_y
      - .offset:         94
        .size:           2
        .value_kind:     hidden_remainder_z
      - .offset:         112
        .size:           8
        .value_kind:     hidden_global_offset_x
      - .offset:         120
        .size:           8
        .value_kind:     hidden_global_offset_y
      - .offset:         128
        .size:           8
        .value_kind:     hidden_global_offset_z
      - .offset:         136
        .size:           2
        .value_kind:     hidden_grid_dims
    .group_segment_fixed_size: 0
    .kernarg_segment_align: 8
    .kernarg_segment_size: 328
    .language:       OpenCL C
    .language_version:
      - 2
      - 0
    .max_flat_workgroup_size: 1024
    .name:           _ZN2at6native30max_unpooling2d_forward_kernelIN3c104HalfEEEvlPKT_PKllllllPS4_
    .private_segment_fixed_size: 0
    .sgpr_count:     46
    .sgpr_spill_count: 0
    .symbol:         _ZN2at6native30max_unpooling2d_forward_kernelIN3c104HalfEEEvlPKT_PKllllllPS4_.kd
    .uniform_work_group_size: 1
    .uses_dynamic_stack: false
    .vgpr_count:     23
    .vgpr_spill_count: 0
    .wavefront_size: 64
  - .args:
      - .offset:         0
        .size:           8
        .value_kind:     by_value
      - .address_space:  global
        .offset:         8
        .size:           8
        .value_kind:     global_buffer
      - .address_space:  global
        .offset:         16
        .size:           8
        .value_kind:     global_buffer
      - .offset:         24
        .size:           8
        .value_kind:     by_value
      - .offset:         32
        .size:           8
        .value_kind:     by_value
      - .offset:         40
        .size:           8
        .value_kind:     by_value
      - .offset:         48
        .size:           8
        .value_kind:     by_value
      - .offset:         56
        .size:           8
        .value_kind:     by_value
      - .address_space:  global
        .offset:         64
        .size:           8
        .value_kind:     global_buffer
      - .offset:         72
        .size:           4
        .value_kind:     hidden_block_count_x
      - .offset:         76
        .size:           4
        .value_kind:     hidden_block_count_y
      - .offset:         80
        .size:           4
        .value_kind:     hidden_block_count_z
      - .offset:         84
        .size:           2
        .value_kind:     hidden_group_size_x
      - .offset:         86
        .size:           2
        .value_kind:     hidden_group_size_y
      - .offset:         88
        .size:           2
        .value_kind:     hidden_group_size_z
      - .offset:         90
        .size:           2
        .value_kind:     hidden_remainder_x
      - .offset:         92
        .size:           2
        .value_kind:     hidden_remainder_y
      - .offset:         94
        .size:           2
        .value_kind:     hidden_remainder_z
      - .offset:         112
        .size:           8
        .value_kind:     hidden_global_offset_x
      - .offset:         120
        .size:           8
        .value_kind:     hidden_global_offset_y
      - .offset:         128
        .size:           8
        .value_kind:     hidden_global_offset_z
      - .offset:         136
        .size:           2
        .value_kind:     hidden_grid_dims
    .group_segment_fixed_size: 0
    .kernarg_segment_align: 8
    .kernarg_segment_size: 328
    .language:       OpenCL C
    .language_version:
      - 2
      - 0
    .max_flat_workgroup_size: 1024
    .name:           _ZN2at6native30max_unpooling2d_forward_kernelIN3c108BFloat16EEEvlPKT_PKllllllPS4_
    .private_segment_fixed_size: 0
    .sgpr_count:     46
    .sgpr_spill_count: 0
    .symbol:         _ZN2at6native30max_unpooling2d_forward_kernelIN3c108BFloat16EEEvlPKT_PKllllllPS4_.kd
    .uniform_work_group_size: 1
    .uses_dynamic_stack: false
    .vgpr_count:     23
    .vgpr_spill_count: 0
    .wavefront_size: 64
  - .args:
      - .offset:         0
        .size:           72
        .value_kind:     by_value
      - .offset:         72
        .size:           72
        .value_kind:     by_value
      - .address_space:  global
        .offset:         144
        .size:           8
        .value_kind:     global_buffer
      - .offset:         152
        .size:           8
        .value_kind:     by_value
      - .offset:         160
        .size:           8
        .value_kind:     by_value
      - .offset:         168
        .size:           8
        .value_kind:     by_value
      - .offset:         176
        .size:           8
        .value_kind:     by_value
      - .offset:         184
        .size:           4
        .value_kind:     hidden_block_count_x
      - .offset:         188
        .size:           4
        .value_kind:     hidden_block_count_y
      - .offset:         192
        .size:           4
        .value_kind:     hidden_block_count_z
      - .offset:         196
        .size:           2
        .value_kind:     hidden_group_size_x
      - .offset:         198
        .size:           2
        .value_kind:     hidden_group_size_y
      - .offset:         200
        .size:           2
        .value_kind:     hidden_group_size_z
      - .offset:         202
        .size:           2
        .value_kind:     hidden_remainder_x
      - .offset:         204
        .size:           2
        .value_kind:     hidden_remainder_y
      - .offset:         206
        .size:           2
        .value_kind:     hidden_remainder_z
      - .offset:         224
        .size:           8
        .value_kind:     hidden_global_offset_x
      - .offset:         232
        .size:           8
        .value_kind:     hidden_global_offset_y
      - .offset:         240
        .size:           8
        .value_kind:     hidden_global_offset_z
      - .offset:         248
        .size:           2
        .value_kind:     hidden_grid_dims
    .group_segment_fixed_size: 0
    .kernarg_segment_align: 8
    .kernarg_segment_size: 440
    .language:       OpenCL C
    .language_version:
      - 2
      - 0
    .max_flat_workgroup_size: 1024
    .name:           _ZN2at6native30max_unpooling3d_forward_kernelIhEEvN5torch10headeronly6detail27GenericPackedTensorAccessorINS4_14TensorAccessorIN3c108ArrayRefIlEEKT_Lm3ENS3_16DefaultPtrTraitsElEENS_6detail16IndexBoundsCheckILm4ElEESB_Lm4ESC_lEENS5_INS6_IS9_KlLm3ESC_lEESG_SI_Lm4ESC_lEEPSA_llll
    .private_segment_fixed_size: 0
    .sgpr_count:     32
    .sgpr_spill_count: 0
    .symbol:         _ZN2at6native30max_unpooling3d_forward_kernelIhEEvN5torch10headeronly6detail27GenericPackedTensorAccessorINS4_14TensorAccessorIN3c108ArrayRefIlEEKT_Lm3ENS3_16DefaultPtrTraitsElEENS_6detail16IndexBoundsCheckILm4ElEESB_Lm4ESC_lEENS5_INS6_IS9_KlLm3ESC_lEESG_SI_Lm4ESC_lEEPSA_llll.kd
    .uniform_work_group_size: 1
    .uses_dynamic_stack: false
    .vgpr_count:     11
    .vgpr_spill_count: 0
    .wavefront_size: 64
  - .args:
      - .offset:         0
        .size:           72
        .value_kind:     by_value
      - .offset:         72
        .size:           72
        .value_kind:     by_value
      - .address_space:  global
        .offset:         144
        .size:           8
        .value_kind:     global_buffer
      - .offset:         152
        .size:           8
        .value_kind:     by_value
      - .offset:         160
        .size:           8
        .value_kind:     by_value
      - .offset:         168
        .size:           8
        .value_kind:     by_value
      - .offset:         176
        .size:           8
        .value_kind:     by_value
      - .offset:         184
        .size:           4
        .value_kind:     hidden_block_count_x
      - .offset:         188
        .size:           4
        .value_kind:     hidden_block_count_y
      - .offset:         192
        .size:           4
        .value_kind:     hidden_block_count_z
      - .offset:         196
        .size:           2
        .value_kind:     hidden_group_size_x
      - .offset:         198
        .size:           2
        .value_kind:     hidden_group_size_y
      - .offset:         200
        .size:           2
        .value_kind:     hidden_group_size_z
      - .offset:         202
        .size:           2
        .value_kind:     hidden_remainder_x
      - .offset:         204
        .size:           2
        .value_kind:     hidden_remainder_y
      - .offset:         206
        .size:           2
        .value_kind:     hidden_remainder_z
      - .offset:         224
        .size:           8
        .value_kind:     hidden_global_offset_x
      - .offset:         232
        .size:           8
        .value_kind:     hidden_global_offset_y
      - .offset:         240
        .size:           8
        .value_kind:     hidden_global_offset_z
      - .offset:         248
        .size:           2
        .value_kind:     hidden_grid_dims
    .group_segment_fixed_size: 0
    .kernarg_segment_align: 8
    .kernarg_segment_size: 440
    .language:       OpenCL C
    .language_version:
      - 2
      - 0
    .max_flat_workgroup_size: 1024
    .name:           _ZN2at6native30max_unpooling3d_forward_kernelIaEEvN5torch10headeronly6detail27GenericPackedTensorAccessorINS4_14TensorAccessorIN3c108ArrayRefIlEEKT_Lm3ENS3_16DefaultPtrTraitsElEENS_6detail16IndexBoundsCheckILm4ElEESB_Lm4ESC_lEENS5_INS6_IS9_KlLm3ESC_lEESG_SI_Lm4ESC_lEEPSA_llll
    .private_segment_fixed_size: 0
    .sgpr_count:     32
    .sgpr_spill_count: 0
    .symbol:         _ZN2at6native30max_unpooling3d_forward_kernelIaEEvN5torch10headeronly6detail27GenericPackedTensorAccessorINS4_14TensorAccessorIN3c108ArrayRefIlEEKT_Lm3ENS3_16DefaultPtrTraitsElEENS_6detail16IndexBoundsCheckILm4ElEESB_Lm4ESC_lEENS5_INS6_IS9_KlLm3ESC_lEESG_SI_Lm4ESC_lEEPSA_llll.kd
    .uniform_work_group_size: 1
    .uses_dynamic_stack: false
    .vgpr_count:     11
    .vgpr_spill_count: 0
    .wavefront_size: 64
  - .args:
      - .offset:         0
        .size:           72
        .value_kind:     by_value
      - .offset:         72
        .size:           72
        .value_kind:     by_value
      - .address_space:  global
        .offset:         144
        .size:           8
        .value_kind:     global_buffer
      - .offset:         152
        .size:           8
        .value_kind:     by_value
      - .offset:         160
        .size:           8
        .value_kind:     by_value
      - .offset:         168
        .size:           8
        .value_kind:     by_value
      - .offset:         176
        .size:           8
        .value_kind:     by_value
      - .offset:         184
        .size:           4
        .value_kind:     hidden_block_count_x
      - .offset:         188
        .size:           4
        .value_kind:     hidden_block_count_y
      - .offset:         192
        .size:           4
        .value_kind:     hidden_block_count_z
      - .offset:         196
        .size:           2
        .value_kind:     hidden_group_size_x
      - .offset:         198
        .size:           2
        .value_kind:     hidden_group_size_y
      - .offset:         200
        .size:           2
        .value_kind:     hidden_group_size_z
      - .offset:         202
        .size:           2
        .value_kind:     hidden_remainder_x
      - .offset:         204
        .size:           2
        .value_kind:     hidden_remainder_y
      - .offset:         206
        .size:           2
        .value_kind:     hidden_remainder_z
      - .offset:         224
        .size:           8
        .value_kind:     hidden_global_offset_x
      - .offset:         232
        .size:           8
        .value_kind:     hidden_global_offset_y
      - .offset:         240
        .size:           8
        .value_kind:     hidden_global_offset_z
      - .offset:         248
        .size:           2
        .value_kind:     hidden_grid_dims
    .group_segment_fixed_size: 0
    .kernarg_segment_align: 8
    .kernarg_segment_size: 440
    .language:       OpenCL C
    .language_version:
      - 2
      - 0
    .max_flat_workgroup_size: 1024
    .name:           _ZN2at6native30max_unpooling3d_forward_kernelIiEEvN5torch10headeronly6detail27GenericPackedTensorAccessorINS4_14TensorAccessorIN3c108ArrayRefIlEEKT_Lm3ENS3_16DefaultPtrTraitsElEENS_6detail16IndexBoundsCheckILm4ElEESB_Lm4ESC_lEENS5_INS6_IS9_KlLm3ESC_lEESG_SI_Lm4ESC_lEEPSA_llll
    .private_segment_fixed_size: 0
    .sgpr_count:     32
    .sgpr_spill_count: 0
    .symbol:         _ZN2at6native30max_unpooling3d_forward_kernelIiEEvN5torch10headeronly6detail27GenericPackedTensorAccessorINS4_14TensorAccessorIN3c108ArrayRefIlEEKT_Lm3ENS3_16DefaultPtrTraitsElEENS_6detail16IndexBoundsCheckILm4ElEESB_Lm4ESC_lEENS5_INS6_IS9_KlLm3ESC_lEESG_SI_Lm4ESC_lEEPSA_llll.kd
    .uniform_work_group_size: 1
    .uses_dynamic_stack: false
    .vgpr_count:     11
    .vgpr_spill_count: 0
    .wavefront_size: 64
  - .args:
      - .offset:         0
        .size:           72
        .value_kind:     by_value
      - .offset:         72
        .size:           72
        .value_kind:     by_value
      - .address_space:  global
        .offset:         144
        .size:           8
        .value_kind:     global_buffer
      - .offset:         152
        .size:           8
        .value_kind:     by_value
      - .offset:         160
        .size:           8
        .value_kind:     by_value
      - .offset:         168
        .size:           8
        .value_kind:     by_value
      - .offset:         176
        .size:           8
        .value_kind:     by_value
      - .offset:         184
        .size:           4
        .value_kind:     hidden_block_count_x
      - .offset:         188
        .size:           4
        .value_kind:     hidden_block_count_y
      - .offset:         192
        .size:           4
        .value_kind:     hidden_block_count_z
      - .offset:         196
        .size:           2
        .value_kind:     hidden_group_size_x
      - .offset:         198
        .size:           2
        .value_kind:     hidden_group_size_y
      - .offset:         200
        .size:           2
        .value_kind:     hidden_group_size_z
      - .offset:         202
        .size:           2
        .value_kind:     hidden_remainder_x
      - .offset:         204
        .size:           2
        .value_kind:     hidden_remainder_y
      - .offset:         206
        .size:           2
        .value_kind:     hidden_remainder_z
      - .offset:         224
        .size:           8
        .value_kind:     hidden_global_offset_x
      - .offset:         232
        .size:           8
        .value_kind:     hidden_global_offset_y
      - .offset:         240
        .size:           8
        .value_kind:     hidden_global_offset_z
      - .offset:         248
        .size:           2
        .value_kind:     hidden_grid_dims
    .group_segment_fixed_size: 0
    .kernarg_segment_align: 8
    .kernarg_segment_size: 440
    .language:       OpenCL C
    .language_version:
      - 2
      - 0
    .max_flat_workgroup_size: 1024
    .name:           _ZN2at6native30max_unpooling3d_forward_kernelIlEEvN5torch10headeronly6detail27GenericPackedTensorAccessorINS4_14TensorAccessorIN3c108ArrayRefIlEEKT_Lm3ENS3_16DefaultPtrTraitsElEENS_6detail16IndexBoundsCheckILm4ElEESB_Lm4ESC_lEENS5_INS6_IS9_KlLm3ESC_lEESG_SI_Lm4ESC_lEEPSA_llll
    .private_segment_fixed_size: 0
    .sgpr_count:     32
    .sgpr_spill_count: 0
    .symbol:         _ZN2at6native30max_unpooling3d_forward_kernelIlEEvN5torch10headeronly6detail27GenericPackedTensorAccessorINS4_14TensorAccessorIN3c108ArrayRefIlEEKT_Lm3ENS3_16DefaultPtrTraitsElEENS_6detail16IndexBoundsCheckILm4ElEESB_Lm4ESC_lEENS5_INS6_IS9_KlLm3ESC_lEESG_SI_Lm4ESC_lEEPSA_llll.kd
    .uniform_work_group_size: 1
    .uses_dynamic_stack: false
    .vgpr_count:     11
    .vgpr_spill_count: 0
    .wavefront_size: 64
  - .args:
      - .offset:         0
        .size:           72
        .value_kind:     by_value
      - .offset:         72
        .size:           72
        .value_kind:     by_value
      - .address_space:  global
        .offset:         144
        .size:           8
        .value_kind:     global_buffer
      - .offset:         152
        .size:           8
        .value_kind:     by_value
      - .offset:         160
        .size:           8
        .value_kind:     by_value
      - .offset:         168
        .size:           8
        .value_kind:     by_value
      - .offset:         176
        .size:           8
        .value_kind:     by_value
      - .offset:         184
        .size:           4
        .value_kind:     hidden_block_count_x
      - .offset:         188
        .size:           4
        .value_kind:     hidden_block_count_y
      - .offset:         192
        .size:           4
        .value_kind:     hidden_block_count_z
      - .offset:         196
        .size:           2
        .value_kind:     hidden_group_size_x
      - .offset:         198
        .size:           2
        .value_kind:     hidden_group_size_y
      - .offset:         200
        .size:           2
        .value_kind:     hidden_group_size_z
      - .offset:         202
        .size:           2
        .value_kind:     hidden_remainder_x
      - .offset:         204
        .size:           2
        .value_kind:     hidden_remainder_y
      - .offset:         206
        .size:           2
        .value_kind:     hidden_remainder_z
      - .offset:         224
        .size:           8
        .value_kind:     hidden_global_offset_x
      - .offset:         232
        .size:           8
        .value_kind:     hidden_global_offset_y
      - .offset:         240
        .size:           8
        .value_kind:     hidden_global_offset_z
      - .offset:         248
        .size:           2
        .value_kind:     hidden_grid_dims
    .group_segment_fixed_size: 0
    .kernarg_segment_align: 8
    .kernarg_segment_size: 440
    .language:       OpenCL C
    .language_version:
      - 2
      - 0
    .max_flat_workgroup_size: 1024
    .name:           _ZN2at6native30max_unpooling3d_forward_kernelIsEEvN5torch10headeronly6detail27GenericPackedTensorAccessorINS4_14TensorAccessorIN3c108ArrayRefIlEEKT_Lm3ENS3_16DefaultPtrTraitsElEENS_6detail16IndexBoundsCheckILm4ElEESB_Lm4ESC_lEENS5_INS6_IS9_KlLm3ESC_lEESG_SI_Lm4ESC_lEEPSA_llll
    .private_segment_fixed_size: 0
    .sgpr_count:     32
    .sgpr_spill_count: 0
    .symbol:         _ZN2at6native30max_unpooling3d_forward_kernelIsEEvN5torch10headeronly6detail27GenericPackedTensorAccessorINS4_14TensorAccessorIN3c108ArrayRefIlEEKT_Lm3ENS3_16DefaultPtrTraitsElEENS_6detail16IndexBoundsCheckILm4ElEESB_Lm4ESC_lEENS5_INS6_IS9_KlLm3ESC_lEESG_SI_Lm4ESC_lEEPSA_llll.kd
    .uniform_work_group_size: 1
    .uses_dynamic_stack: false
    .vgpr_count:     11
    .vgpr_spill_count: 0
    .wavefront_size: 64
  - .args:
      - .offset:         0
        .size:           72
        .value_kind:     by_value
      - .offset:         72
        .size:           72
        .value_kind:     by_value
      - .address_space:  global
        .offset:         144
        .size:           8
        .value_kind:     global_buffer
      - .offset:         152
        .size:           8
        .value_kind:     by_value
      - .offset:         160
        .size:           8
        .value_kind:     by_value
      - .offset:         168
        .size:           8
        .value_kind:     by_value
      - .offset:         176
        .size:           8
        .value_kind:     by_value
      - .offset:         184
        .size:           4
        .value_kind:     hidden_block_count_x
      - .offset:         188
        .size:           4
        .value_kind:     hidden_block_count_y
      - .offset:         192
        .size:           4
        .value_kind:     hidden_block_count_z
      - .offset:         196
        .size:           2
        .value_kind:     hidden_group_size_x
      - .offset:         198
        .size:           2
        .value_kind:     hidden_group_size_y
      - .offset:         200
        .size:           2
        .value_kind:     hidden_group_size_z
      - .offset:         202
        .size:           2
        .value_kind:     hidden_remainder_x
      - .offset:         204
        .size:           2
        .value_kind:     hidden_remainder_y
      - .offset:         206
        .size:           2
        .value_kind:     hidden_remainder_z
      - .offset:         224
        .size:           8
        .value_kind:     hidden_global_offset_x
      - .offset:         232
        .size:           8
        .value_kind:     hidden_global_offset_y
      - .offset:         240
        .size:           8
        .value_kind:     hidden_global_offset_z
      - .offset:         248
        .size:           2
        .value_kind:     hidden_grid_dims
    .group_segment_fixed_size: 0
    .kernarg_segment_align: 8
    .kernarg_segment_size: 440
    .language:       OpenCL C
    .language_version:
      - 2
      - 0
    .max_flat_workgroup_size: 1024
    .name:           _ZN2at6native30max_unpooling3d_forward_kernelIdEEvN5torch10headeronly6detail27GenericPackedTensorAccessorINS4_14TensorAccessorIN3c108ArrayRefIlEEKT_Lm3ENS3_16DefaultPtrTraitsElEENS_6detail16IndexBoundsCheckILm4ElEESB_Lm4ESC_lEENS5_INS6_IS9_KlLm3ESC_lEESG_SI_Lm4ESC_lEEPSA_llll
    .private_segment_fixed_size: 0
    .sgpr_count:     32
    .sgpr_spill_count: 0
    .symbol:         _ZN2at6native30max_unpooling3d_forward_kernelIdEEvN5torch10headeronly6detail27GenericPackedTensorAccessorINS4_14TensorAccessorIN3c108ArrayRefIlEEKT_Lm3ENS3_16DefaultPtrTraitsElEENS_6detail16IndexBoundsCheckILm4ElEESB_Lm4ESC_lEENS5_INS6_IS9_KlLm3ESC_lEESG_SI_Lm4ESC_lEEPSA_llll.kd
    .uniform_work_group_size: 1
    .uses_dynamic_stack: false
    .vgpr_count:     11
    .vgpr_spill_count: 0
    .wavefront_size: 64
  - .args:
      - .offset:         0
        .size:           72
        .value_kind:     by_value
      - .offset:         72
        .size:           72
        .value_kind:     by_value
      - .address_space:  global
        .offset:         144
        .size:           8
        .value_kind:     global_buffer
      - .offset:         152
        .size:           8
        .value_kind:     by_value
      - .offset:         160
        .size:           8
        .value_kind:     by_value
      - .offset:         168
        .size:           8
        .value_kind:     by_value
      - .offset:         176
        .size:           8
        .value_kind:     by_value
      - .offset:         184
        .size:           4
        .value_kind:     hidden_block_count_x
      - .offset:         188
        .size:           4
        .value_kind:     hidden_block_count_y
      - .offset:         192
        .size:           4
        .value_kind:     hidden_block_count_z
      - .offset:         196
        .size:           2
        .value_kind:     hidden_group_size_x
      - .offset:         198
        .size:           2
        .value_kind:     hidden_group_size_y
      - .offset:         200
        .size:           2
        .value_kind:     hidden_group_size_z
      - .offset:         202
        .size:           2
        .value_kind:     hidden_remainder_x
      - .offset:         204
        .size:           2
        .value_kind:     hidden_remainder_y
      - .offset:         206
        .size:           2
        .value_kind:     hidden_remainder_z
      - .offset:         224
        .size:           8
        .value_kind:     hidden_global_offset_x
      - .offset:         232
        .size:           8
        .value_kind:     hidden_global_offset_y
      - .offset:         240
        .size:           8
        .value_kind:     hidden_global_offset_z
      - .offset:         248
        .size:           2
        .value_kind:     hidden_grid_dims
    .group_segment_fixed_size: 0
    .kernarg_segment_align: 8
    .kernarg_segment_size: 440
    .language:       OpenCL C
    .language_version:
      - 2
      - 0
    .max_flat_workgroup_size: 1024
    .name:           _ZN2at6native30max_unpooling3d_forward_kernelIfEEvN5torch10headeronly6detail27GenericPackedTensorAccessorINS4_14TensorAccessorIN3c108ArrayRefIlEEKT_Lm3ENS3_16DefaultPtrTraitsElEENS_6detail16IndexBoundsCheckILm4ElEESB_Lm4ESC_lEENS5_INS6_IS9_KlLm3ESC_lEESG_SI_Lm4ESC_lEEPSA_llll
    .private_segment_fixed_size: 0
    .sgpr_count:     32
    .sgpr_spill_count: 0
    .symbol:         _ZN2at6native30max_unpooling3d_forward_kernelIfEEvN5torch10headeronly6detail27GenericPackedTensorAccessorINS4_14TensorAccessorIN3c108ArrayRefIlEEKT_Lm3ENS3_16DefaultPtrTraitsElEENS_6detail16IndexBoundsCheckILm4ElEESB_Lm4ESC_lEENS5_INS6_IS9_KlLm3ESC_lEESG_SI_Lm4ESC_lEEPSA_llll.kd
    .uniform_work_group_size: 1
    .uses_dynamic_stack: false
    .vgpr_count:     11
    .vgpr_spill_count: 0
    .wavefront_size: 64
  - .args:
      - .offset:         0
        .size:           72
        .value_kind:     by_value
      - .offset:         72
        .size:           72
        .value_kind:     by_value
      - .address_space:  global
        .offset:         144
        .size:           8
        .value_kind:     global_buffer
      - .offset:         152
        .size:           8
        .value_kind:     by_value
      - .offset:         160
        .size:           8
        .value_kind:     by_value
      - .offset:         168
        .size:           8
        .value_kind:     by_value
      - .offset:         176
        .size:           8
        .value_kind:     by_value
      - .offset:         184
        .size:           4
        .value_kind:     hidden_block_count_x
      - .offset:         188
        .size:           4
        .value_kind:     hidden_block_count_y
      - .offset:         192
        .size:           4
        .value_kind:     hidden_block_count_z
      - .offset:         196
        .size:           2
        .value_kind:     hidden_group_size_x
      - .offset:         198
        .size:           2
        .value_kind:     hidden_group_size_y
      - .offset:         200
        .size:           2
        .value_kind:     hidden_group_size_z
      - .offset:         202
        .size:           2
        .value_kind:     hidden_remainder_x
      - .offset:         204
        .size:           2
        .value_kind:     hidden_remainder_y
      - .offset:         206
        .size:           2
        .value_kind:     hidden_remainder_z
      - .offset:         224
        .size:           8
        .value_kind:     hidden_global_offset_x
      - .offset:         232
        .size:           8
        .value_kind:     hidden_global_offset_y
      - .offset:         240
        .size:           8
        .value_kind:     hidden_global_offset_z
      - .offset:         248
        .size:           2
        .value_kind:     hidden_grid_dims
    .group_segment_fixed_size: 0
    .kernarg_segment_align: 8
    .kernarg_segment_size: 440
    .language:       OpenCL C
    .language_version:
      - 2
      - 0
    .max_flat_workgroup_size: 1024
    .name:           _ZN2at6native30max_unpooling3d_forward_kernelIN3c104HalfEEEvN5torch10headeronly6detail27GenericPackedTensorAccessorINS6_14TensorAccessorINS2_8ArrayRefIlEEKT_Lm3ENS5_16DefaultPtrTraitsElEENS_6detail16IndexBoundsCheckILm4ElEESC_Lm4ESD_lEENS7_INS8_ISA_KlLm3ESD_lEESH_SJ_Lm4ESD_lEEPSB_llll
    .private_segment_fixed_size: 0
    .sgpr_count:     32
    .sgpr_spill_count: 0
    .symbol:         _ZN2at6native30max_unpooling3d_forward_kernelIN3c104HalfEEEvN5torch10headeronly6detail27GenericPackedTensorAccessorINS6_14TensorAccessorINS2_8ArrayRefIlEEKT_Lm3ENS5_16DefaultPtrTraitsElEENS_6detail16IndexBoundsCheckILm4ElEESC_Lm4ESD_lEENS7_INS8_ISA_KlLm3ESD_lEESH_SJ_Lm4ESD_lEEPSB_llll.kd
    .uniform_work_group_size: 1
    .uses_dynamic_stack: false
    .vgpr_count:     11
    .vgpr_spill_count: 0
    .wavefront_size: 64
  - .args:
      - .offset:         0
        .size:           72
        .value_kind:     by_value
      - .offset:         72
        .size:           72
        .value_kind:     by_value
      - .address_space:  global
        .offset:         144
        .size:           8
        .value_kind:     global_buffer
      - .offset:         152
        .size:           8
        .value_kind:     by_value
      - .offset:         160
        .size:           8
        .value_kind:     by_value
      - .offset:         168
        .size:           8
        .value_kind:     by_value
      - .offset:         176
        .size:           8
        .value_kind:     by_value
      - .offset:         184
        .size:           4
        .value_kind:     hidden_block_count_x
      - .offset:         188
        .size:           4
        .value_kind:     hidden_block_count_y
      - .offset:         192
        .size:           4
        .value_kind:     hidden_block_count_z
      - .offset:         196
        .size:           2
        .value_kind:     hidden_group_size_x
      - .offset:         198
        .size:           2
        .value_kind:     hidden_group_size_y
      - .offset:         200
        .size:           2
        .value_kind:     hidden_group_size_z
      - .offset:         202
        .size:           2
        .value_kind:     hidden_remainder_x
      - .offset:         204
        .size:           2
        .value_kind:     hidden_remainder_y
      - .offset:         206
        .size:           2
        .value_kind:     hidden_remainder_z
      - .offset:         224
        .size:           8
        .value_kind:     hidden_global_offset_x
      - .offset:         232
        .size:           8
        .value_kind:     hidden_global_offset_y
      - .offset:         240
        .size:           8
        .value_kind:     hidden_global_offset_z
      - .offset:         248
        .size:           2
        .value_kind:     hidden_grid_dims
    .group_segment_fixed_size: 0
    .kernarg_segment_align: 8
    .kernarg_segment_size: 440
    .language:       OpenCL C
    .language_version:
      - 2
      - 0
    .max_flat_workgroup_size: 1024
    .name:           _ZN2at6native30max_unpooling3d_forward_kernelIN3c108BFloat16EEEvN5torch10headeronly6detail27GenericPackedTensorAccessorINS6_14TensorAccessorINS2_8ArrayRefIlEEKT_Lm3ENS5_16DefaultPtrTraitsElEENS_6detail16IndexBoundsCheckILm4ElEESC_Lm4ESD_lEENS7_INS8_ISA_KlLm3ESD_lEESH_SJ_Lm4ESD_lEEPSB_llll
    .private_segment_fixed_size: 0
    .sgpr_count:     32
    .sgpr_spill_count: 0
    .symbol:         _ZN2at6native30max_unpooling3d_forward_kernelIN3c108BFloat16EEEvN5torch10headeronly6detail27GenericPackedTensorAccessorINS6_14TensorAccessorINS2_8ArrayRefIlEEKT_Lm3ENS5_16DefaultPtrTraitsElEENS_6detail16IndexBoundsCheckILm4ElEESC_Lm4ESD_lEENS7_INS8_ISA_KlLm3ESD_lEESH_SJ_Lm4ESD_lEEPSB_llll.kd
    .uniform_work_group_size: 1
    .uses_dynamic_stack: false
    .vgpr_count:     11
    .vgpr_spill_count: 0
    .wavefront_size: 64
  - .args:
      - .offset:         0
        .size:           8
        .value_kind:     by_value
      - .address_space:  global
        .offset:         8
        .size:           8
        .value_kind:     global_buffer
      - .address_space:  global
        .offset:         16
        .size:           8
        .value_kind:     global_buffer
      - .offset:         24
        .size:           8
        .value_kind:     by_value
      - .offset:         32
        .size:           8
        .value_kind:     by_value
      - .offset:         40
        .size:           8
        .value_kind:     by_value
      - .offset:         48
        .size:           8
        .value_kind:     by_value
      - .offset:         56
        .size:           8
        .value_kind:     by_value
      - .address_space:  global
        .offset:         64
        .size:           8
        .value_kind:     global_buffer
      - .offset:         72
        .size:           4
        .value_kind:     hidden_block_count_x
      - .offset:         76
        .size:           4
        .value_kind:     hidden_block_count_y
      - .offset:         80
        .size:           4
        .value_kind:     hidden_block_count_z
      - .offset:         84
        .size:           2
        .value_kind:     hidden_group_size_x
      - .offset:         86
        .size:           2
        .value_kind:     hidden_group_size_y
      - .offset:         88
        .size:           2
        .value_kind:     hidden_group_size_z
      - .offset:         90
        .size:           2
        .value_kind:     hidden_remainder_x
      - .offset:         92
        .size:           2
        .value_kind:     hidden_remainder_y
      - .offset:         94
        .size:           2
        .value_kind:     hidden_remainder_z
      - .offset:         112
        .size:           8
        .value_kind:     hidden_global_offset_x
      - .offset:         120
        .size:           8
        .value_kind:     hidden_global_offset_y
      - .offset:         128
        .size:           8
        .value_kind:     hidden_global_offset_z
      - .offset:         136
        .size:           2
        .value_kind:     hidden_grid_dims
    .group_segment_fixed_size: 0
    .kernarg_segment_align: 8
    .kernarg_segment_size: 328
    .language:       OpenCL C
    .language_version:
      - 2
      - 0
    .max_flat_workgroup_size: 1024
    .name:           _ZN2at6native31max_unpooling2d_backward_kernelIhEEvlPKT_PKllllllPS2_
    .private_segment_fixed_size: 0
    .sgpr_count:     39
    .sgpr_spill_count: 0
    .symbol:         _ZN2at6native31max_unpooling2d_backward_kernelIhEEvlPKT_PKllllllPS2_.kd
    .uniform_work_group_size: 1
    .uses_dynamic_stack: false
    .vgpr_count:     20
    .vgpr_spill_count: 0
    .wavefront_size: 64
  - .args:
      - .offset:         0
        .size:           8
        .value_kind:     by_value
      - .address_space:  global
        .offset:         8
        .size:           8
        .value_kind:     global_buffer
      - .address_space:  global
        .offset:         16
        .size:           8
        .value_kind:     global_buffer
      - .offset:         24
        .size:           8
        .value_kind:     by_value
      - .offset:         32
        .size:           8
        .value_kind:     by_value
      - .offset:         40
        .size:           8
        .value_kind:     by_value
      - .offset:         48
        .size:           8
        .value_kind:     by_value
      - .offset:         56
        .size:           8
        .value_kind:     by_value
      - .address_space:  global
        .offset:         64
        .size:           8
        .value_kind:     global_buffer
      - .offset:         72
        .size:           4
        .value_kind:     hidden_block_count_x
      - .offset:         76
        .size:           4
        .value_kind:     hidden_block_count_y
      - .offset:         80
        .size:           4
        .value_kind:     hidden_block_count_z
      - .offset:         84
        .size:           2
        .value_kind:     hidden_group_size_x
      - .offset:         86
        .size:           2
        .value_kind:     hidden_group_size_y
      - .offset:         88
        .size:           2
        .value_kind:     hidden_group_size_z
      - .offset:         90
        .size:           2
        .value_kind:     hidden_remainder_x
      - .offset:         92
        .size:           2
        .value_kind:     hidden_remainder_y
      - .offset:         94
        .size:           2
        .value_kind:     hidden_remainder_z
      - .offset:         112
        .size:           8
        .value_kind:     hidden_global_offset_x
      - .offset:         120
        .size:           8
        .value_kind:     hidden_global_offset_y
      - .offset:         128
        .size:           8
        .value_kind:     hidden_global_offset_z
      - .offset:         136
        .size:           2
        .value_kind:     hidden_grid_dims
    .group_segment_fixed_size: 0
    .kernarg_segment_align: 8
    .kernarg_segment_size: 328
    .language:       OpenCL C
    .language_version:
      - 2
      - 0
    .max_flat_workgroup_size: 1024
    .name:           _ZN2at6native31max_unpooling2d_backward_kernelIaEEvlPKT_PKllllllPS2_
    .private_segment_fixed_size: 0
    .sgpr_count:     39
    .sgpr_spill_count: 0
    .symbol:         _ZN2at6native31max_unpooling2d_backward_kernelIaEEvlPKT_PKllllllPS2_.kd
    .uniform_work_group_size: 1
    .uses_dynamic_stack: false
    .vgpr_count:     20
    .vgpr_spill_count: 0
    .wavefront_size: 64
  - .args:
      - .offset:         0
        .size:           8
        .value_kind:     by_value
      - .address_space:  global
        .offset:         8
        .size:           8
        .value_kind:     global_buffer
      - .address_space:  global
        .offset:         16
        .size:           8
        .value_kind:     global_buffer
      - .offset:         24
        .size:           8
        .value_kind:     by_value
      - .offset:         32
        .size:           8
        .value_kind:     by_value
      - .offset:         40
        .size:           8
        .value_kind:     by_value
      - .offset:         48
        .size:           8
        .value_kind:     by_value
      - .offset:         56
        .size:           8
        .value_kind:     by_value
      - .address_space:  global
        .offset:         64
        .size:           8
        .value_kind:     global_buffer
      - .offset:         72
        .size:           4
        .value_kind:     hidden_block_count_x
      - .offset:         76
        .size:           4
        .value_kind:     hidden_block_count_y
      - .offset:         80
        .size:           4
        .value_kind:     hidden_block_count_z
      - .offset:         84
        .size:           2
        .value_kind:     hidden_group_size_x
      - .offset:         86
        .size:           2
        .value_kind:     hidden_group_size_y
      - .offset:         88
        .size:           2
        .value_kind:     hidden_group_size_z
      - .offset:         90
        .size:           2
        .value_kind:     hidden_remainder_x
      - .offset:         92
        .size:           2
        .value_kind:     hidden_remainder_y
      - .offset:         94
        .size:           2
        .value_kind:     hidden_remainder_z
      - .offset:         112
        .size:           8
        .value_kind:     hidden_global_offset_x
      - .offset:         120
        .size:           8
        .value_kind:     hidden_global_offset_y
      - .offset:         128
        .size:           8
        .value_kind:     hidden_global_offset_z
      - .offset:         136
        .size:           2
        .value_kind:     hidden_grid_dims
    .group_segment_fixed_size: 0
    .kernarg_segment_align: 8
    .kernarg_segment_size: 328
    .language:       OpenCL C
    .language_version:
      - 2
      - 0
    .max_flat_workgroup_size: 1024
    .name:           _ZN2at6native31max_unpooling2d_backward_kernelIiEEvlPKT_PKllllllPS2_
    .private_segment_fixed_size: 0
    .sgpr_count:     39
    .sgpr_spill_count: 0
    .symbol:         _ZN2at6native31max_unpooling2d_backward_kernelIiEEvlPKT_PKllllllPS2_.kd
    .uniform_work_group_size: 1
    .uses_dynamic_stack: false
    .vgpr_count:     20
    .vgpr_spill_count: 0
    .wavefront_size: 64
  - .args:
      - .offset:         0
        .size:           8
        .value_kind:     by_value
      - .address_space:  global
        .offset:         8
        .size:           8
        .value_kind:     global_buffer
      - .address_space:  global
        .offset:         16
        .size:           8
        .value_kind:     global_buffer
      - .offset:         24
        .size:           8
        .value_kind:     by_value
      - .offset:         32
        .size:           8
        .value_kind:     by_value
      - .offset:         40
        .size:           8
        .value_kind:     by_value
      - .offset:         48
        .size:           8
        .value_kind:     by_value
      - .offset:         56
        .size:           8
        .value_kind:     by_value
      - .address_space:  global
        .offset:         64
        .size:           8
        .value_kind:     global_buffer
      - .offset:         72
        .size:           4
        .value_kind:     hidden_block_count_x
      - .offset:         76
        .size:           4
        .value_kind:     hidden_block_count_y
      - .offset:         80
        .size:           4
        .value_kind:     hidden_block_count_z
      - .offset:         84
        .size:           2
        .value_kind:     hidden_group_size_x
      - .offset:         86
        .size:           2
        .value_kind:     hidden_group_size_y
      - .offset:         88
        .size:           2
        .value_kind:     hidden_group_size_z
      - .offset:         90
        .size:           2
        .value_kind:     hidden_remainder_x
      - .offset:         92
        .size:           2
        .value_kind:     hidden_remainder_y
      - .offset:         94
        .size:           2
        .value_kind:     hidden_remainder_z
      - .offset:         112
        .size:           8
        .value_kind:     hidden_global_offset_x
      - .offset:         120
        .size:           8
        .value_kind:     hidden_global_offset_y
      - .offset:         128
        .size:           8
        .value_kind:     hidden_global_offset_z
      - .offset:         136
        .size:           2
        .value_kind:     hidden_grid_dims
    .group_segment_fixed_size: 0
    .kernarg_segment_align: 8
    .kernarg_segment_size: 328
    .language:       OpenCL C
    .language_version:
      - 2
      - 0
    .max_flat_workgroup_size: 1024
    .name:           _ZN2at6native31max_unpooling2d_backward_kernelIlEEvlPKT_PKllllllPS2_
    .private_segment_fixed_size: 0
    .sgpr_count:     39
    .sgpr_spill_count: 0
    .symbol:         _ZN2at6native31max_unpooling2d_backward_kernelIlEEvlPKT_PKllllllPS2_.kd
    .uniform_work_group_size: 1
    .uses_dynamic_stack: false
    .vgpr_count:     20
    .vgpr_spill_count: 0
    .wavefront_size: 64
  - .args:
      - .offset:         0
        .size:           8
        .value_kind:     by_value
      - .address_space:  global
        .offset:         8
        .size:           8
        .value_kind:     global_buffer
      - .address_space:  global
        .offset:         16
        .size:           8
        .value_kind:     global_buffer
      - .offset:         24
        .size:           8
        .value_kind:     by_value
      - .offset:         32
        .size:           8
        .value_kind:     by_value
      - .offset:         40
        .size:           8
        .value_kind:     by_value
      - .offset:         48
        .size:           8
        .value_kind:     by_value
      - .offset:         56
        .size:           8
        .value_kind:     by_value
      - .address_space:  global
        .offset:         64
        .size:           8
        .value_kind:     global_buffer
      - .offset:         72
        .size:           4
        .value_kind:     hidden_block_count_x
      - .offset:         76
        .size:           4
        .value_kind:     hidden_block_count_y
      - .offset:         80
        .size:           4
        .value_kind:     hidden_block_count_z
      - .offset:         84
        .size:           2
        .value_kind:     hidden_group_size_x
      - .offset:         86
        .size:           2
        .value_kind:     hidden_group_size_y
      - .offset:         88
        .size:           2
        .value_kind:     hidden_group_size_z
      - .offset:         90
        .size:           2
        .value_kind:     hidden_remainder_x
      - .offset:         92
        .size:           2
        .value_kind:     hidden_remainder_y
      - .offset:         94
        .size:           2
        .value_kind:     hidden_remainder_z
      - .offset:         112
        .size:           8
        .value_kind:     hidden_global_offset_x
      - .offset:         120
        .size:           8
        .value_kind:     hidden_global_offset_y
      - .offset:         128
        .size:           8
        .value_kind:     hidden_global_offset_z
      - .offset:         136
        .size:           2
        .value_kind:     hidden_grid_dims
    .group_segment_fixed_size: 0
    .kernarg_segment_align: 8
    .kernarg_segment_size: 328
    .language:       OpenCL C
    .language_version:
      - 2
      - 0
    .max_flat_workgroup_size: 1024
    .name:           _ZN2at6native31max_unpooling2d_backward_kernelIsEEvlPKT_PKllllllPS2_
    .private_segment_fixed_size: 0
    .sgpr_count:     39
    .sgpr_spill_count: 0
    .symbol:         _ZN2at6native31max_unpooling2d_backward_kernelIsEEvlPKT_PKllllllPS2_.kd
    .uniform_work_group_size: 1
    .uses_dynamic_stack: false
    .vgpr_count:     20
    .vgpr_spill_count: 0
    .wavefront_size: 64
  - .args:
      - .offset:         0
        .size:           8
        .value_kind:     by_value
      - .address_space:  global
        .offset:         8
        .size:           8
        .value_kind:     global_buffer
      - .address_space:  global
        .offset:         16
        .size:           8
        .value_kind:     global_buffer
      - .offset:         24
        .size:           8
        .value_kind:     by_value
      - .offset:         32
        .size:           8
        .value_kind:     by_value
      - .offset:         40
        .size:           8
        .value_kind:     by_value
      - .offset:         48
        .size:           8
        .value_kind:     by_value
      - .offset:         56
        .size:           8
        .value_kind:     by_value
      - .address_space:  global
        .offset:         64
        .size:           8
        .value_kind:     global_buffer
      - .offset:         72
        .size:           4
        .value_kind:     hidden_block_count_x
      - .offset:         76
        .size:           4
        .value_kind:     hidden_block_count_y
      - .offset:         80
        .size:           4
        .value_kind:     hidden_block_count_z
      - .offset:         84
        .size:           2
        .value_kind:     hidden_group_size_x
      - .offset:         86
        .size:           2
        .value_kind:     hidden_group_size_y
      - .offset:         88
        .size:           2
        .value_kind:     hidden_group_size_z
      - .offset:         90
        .size:           2
        .value_kind:     hidden_remainder_x
      - .offset:         92
        .size:           2
        .value_kind:     hidden_remainder_y
      - .offset:         94
        .size:           2
        .value_kind:     hidden_remainder_z
      - .offset:         112
        .size:           8
        .value_kind:     hidden_global_offset_x
      - .offset:         120
        .size:           8
        .value_kind:     hidden_global_offset_y
      - .offset:         128
        .size:           8
        .value_kind:     hidden_global_offset_z
      - .offset:         136
        .size:           2
        .value_kind:     hidden_grid_dims
    .group_segment_fixed_size: 0
    .kernarg_segment_align: 8
    .kernarg_segment_size: 328
    .language:       OpenCL C
    .language_version:
      - 2
      - 0
    .max_flat_workgroup_size: 1024
    .name:           _ZN2at6native31max_unpooling2d_backward_kernelIdEEvlPKT_PKllllllPS2_
    .private_segment_fixed_size: 0
    .sgpr_count:     39
    .sgpr_spill_count: 0
    .symbol:         _ZN2at6native31max_unpooling2d_backward_kernelIdEEvlPKT_PKllllllPS2_.kd
    .uniform_work_group_size: 1
    .uses_dynamic_stack: false
    .vgpr_count:     20
    .vgpr_spill_count: 0
    .wavefront_size: 64
  - .args:
      - .offset:         0
        .size:           8
        .value_kind:     by_value
      - .address_space:  global
        .offset:         8
        .size:           8
        .value_kind:     global_buffer
      - .address_space:  global
        .offset:         16
        .size:           8
        .value_kind:     global_buffer
      - .offset:         24
        .size:           8
        .value_kind:     by_value
      - .offset:         32
        .size:           8
        .value_kind:     by_value
      - .offset:         40
        .size:           8
        .value_kind:     by_value
      - .offset:         48
        .size:           8
        .value_kind:     by_value
      - .offset:         56
        .size:           8
        .value_kind:     by_value
      - .address_space:  global
        .offset:         64
        .size:           8
        .value_kind:     global_buffer
      - .offset:         72
        .size:           4
        .value_kind:     hidden_block_count_x
      - .offset:         76
        .size:           4
        .value_kind:     hidden_block_count_y
      - .offset:         80
        .size:           4
        .value_kind:     hidden_block_count_z
      - .offset:         84
        .size:           2
        .value_kind:     hidden_group_size_x
      - .offset:         86
        .size:           2
        .value_kind:     hidden_group_size_y
      - .offset:         88
        .size:           2
        .value_kind:     hidden_group_size_z
      - .offset:         90
        .size:           2
        .value_kind:     hidden_remainder_x
      - .offset:         92
        .size:           2
        .value_kind:     hidden_remainder_y
      - .offset:         94
        .size:           2
        .value_kind:     hidden_remainder_z
      - .offset:         112
        .size:           8
        .value_kind:     hidden_global_offset_x
      - .offset:         120
        .size:           8
        .value_kind:     hidden_global_offset_y
      - .offset:         128
        .size:           8
        .value_kind:     hidden_global_offset_z
      - .offset:         136
        .size:           2
        .value_kind:     hidden_grid_dims
    .group_segment_fixed_size: 0
    .kernarg_segment_align: 8
    .kernarg_segment_size: 328
    .language:       OpenCL C
    .language_version:
      - 2
      - 0
    .max_flat_workgroup_size: 1024
    .name:           _ZN2at6native31max_unpooling2d_backward_kernelIfEEvlPKT_PKllllllPS2_
    .private_segment_fixed_size: 0
    .sgpr_count:     39
    .sgpr_spill_count: 0
    .symbol:         _ZN2at6native31max_unpooling2d_backward_kernelIfEEvlPKT_PKllllllPS2_.kd
    .uniform_work_group_size: 1
    .uses_dynamic_stack: false
    .vgpr_count:     20
    .vgpr_spill_count: 0
    .wavefront_size: 64
  - .args:
      - .offset:         0
        .size:           8
        .value_kind:     by_value
      - .address_space:  global
        .offset:         8
        .size:           8
        .value_kind:     global_buffer
      - .address_space:  global
        .offset:         16
        .size:           8
        .value_kind:     global_buffer
      - .offset:         24
        .size:           8
        .value_kind:     by_value
      - .offset:         32
        .size:           8
        .value_kind:     by_value
      - .offset:         40
        .size:           8
        .value_kind:     by_value
      - .offset:         48
        .size:           8
        .value_kind:     by_value
      - .offset:         56
        .size:           8
        .value_kind:     by_value
      - .address_space:  global
        .offset:         64
        .size:           8
        .value_kind:     global_buffer
      - .offset:         72
        .size:           4
        .value_kind:     hidden_block_count_x
      - .offset:         76
        .size:           4
        .value_kind:     hidden_block_count_y
      - .offset:         80
        .size:           4
        .value_kind:     hidden_block_count_z
      - .offset:         84
        .size:           2
        .value_kind:     hidden_group_size_x
      - .offset:         86
        .size:           2
        .value_kind:     hidden_group_size_y
      - .offset:         88
        .size:           2
        .value_kind:     hidden_group_size_z
      - .offset:         90
        .size:           2
        .value_kind:     hidden_remainder_x
      - .offset:         92
        .size:           2
        .value_kind:     hidden_remainder_y
      - .offset:         94
        .size:           2
        .value_kind:     hidden_remainder_z
      - .offset:         112
        .size:           8
        .value_kind:     hidden_global_offset_x
      - .offset:         120
        .size:           8
        .value_kind:     hidden_global_offset_y
      - .offset:         128
        .size:           8
        .value_kind:     hidden_global_offset_z
      - .offset:         136
        .size:           2
        .value_kind:     hidden_grid_dims
    .group_segment_fixed_size: 0
    .kernarg_segment_align: 8
    .kernarg_segment_size: 328
    .language:       OpenCL C
    .language_version:
      - 2
      - 0
    .max_flat_workgroup_size: 1024
    .name:           _ZN2at6native31max_unpooling2d_backward_kernelIN3c104HalfEEEvlPKT_PKllllllPS4_
    .private_segment_fixed_size: 0
    .sgpr_count:     39
    .sgpr_spill_count: 0
    .symbol:         _ZN2at6native31max_unpooling2d_backward_kernelIN3c104HalfEEEvlPKT_PKllllllPS4_.kd
    .uniform_work_group_size: 1
    .uses_dynamic_stack: false
    .vgpr_count:     20
    .vgpr_spill_count: 0
    .wavefront_size: 64
  - .args:
      - .offset:         0
        .size:           8
        .value_kind:     by_value
      - .address_space:  global
        .offset:         8
        .size:           8
        .value_kind:     global_buffer
      - .address_space:  global
        .offset:         16
        .size:           8
        .value_kind:     global_buffer
      - .offset:         24
        .size:           8
        .value_kind:     by_value
      - .offset:         32
        .size:           8
        .value_kind:     by_value
      - .offset:         40
        .size:           8
        .value_kind:     by_value
      - .offset:         48
        .size:           8
        .value_kind:     by_value
      - .offset:         56
        .size:           8
        .value_kind:     by_value
      - .address_space:  global
        .offset:         64
        .size:           8
        .value_kind:     global_buffer
      - .offset:         72
        .size:           4
        .value_kind:     hidden_block_count_x
      - .offset:         76
        .size:           4
        .value_kind:     hidden_block_count_y
      - .offset:         80
        .size:           4
        .value_kind:     hidden_block_count_z
      - .offset:         84
        .size:           2
        .value_kind:     hidden_group_size_x
      - .offset:         86
        .size:           2
        .value_kind:     hidden_group_size_y
      - .offset:         88
        .size:           2
        .value_kind:     hidden_group_size_z
      - .offset:         90
        .size:           2
        .value_kind:     hidden_remainder_x
      - .offset:         92
        .size:           2
        .value_kind:     hidden_remainder_y
      - .offset:         94
        .size:           2
        .value_kind:     hidden_remainder_z
      - .offset:         112
        .size:           8
        .value_kind:     hidden_global_offset_x
      - .offset:         120
        .size:           8
        .value_kind:     hidden_global_offset_y
      - .offset:         128
        .size:           8
        .value_kind:     hidden_global_offset_z
      - .offset:         136
        .size:           2
        .value_kind:     hidden_grid_dims
    .group_segment_fixed_size: 0
    .kernarg_segment_align: 8
    .kernarg_segment_size: 328
    .language:       OpenCL C
    .language_version:
      - 2
      - 0
    .max_flat_workgroup_size: 1024
    .name:           _ZN2at6native31max_unpooling2d_backward_kernelIN3c108BFloat16EEEvlPKT_PKllllllPS4_
    .private_segment_fixed_size: 0
    .sgpr_count:     39
    .sgpr_spill_count: 0
    .symbol:         _ZN2at6native31max_unpooling2d_backward_kernelIN3c108BFloat16EEEvlPKT_PKllllllPS4_.kd
    .uniform_work_group_size: 1
    .uses_dynamic_stack: false
    .vgpr_count:     20
    .vgpr_spill_count: 0
    .wavefront_size: 64
  - .args:
      - .address_space:  global
        .offset:         0
        .size:           8
        .value_kind:     global_buffer
      - .offset:         8
        .size:           8
        .value_kind:     by_value
      - .offset:         16
        .size:           8
        .value_kind:     by_value
      - .offset:         24
        .size:           8
        .value_kind:     by_value
      - .offset:         32
        .size:           72
        .value_kind:     by_value
      - .offset:         104
        .size:           72
        .value_kind:     by_value
      - .offset:         176
        .size:           4
        .value_kind:     by_value
      - .offset:         184
        .size:           4
        .value_kind:     hidden_block_count_x
      - .offset:         188
        .size:           4
        .value_kind:     hidden_block_count_y
      - .offset:         192
        .size:           4
        .value_kind:     hidden_block_count_z
      - .offset:         196
        .size:           2
        .value_kind:     hidden_group_size_x
      - .offset:         198
        .size:           2
        .value_kind:     hidden_group_size_y
      - .offset:         200
        .size:           2
        .value_kind:     hidden_group_size_z
      - .offset:         202
        .size:           2
        .value_kind:     hidden_remainder_x
      - .offset:         204
        .size:           2
        .value_kind:     hidden_remainder_y
      - .offset:         206
        .size:           2
        .value_kind:     hidden_remainder_z
      - .offset:         224
        .size:           8
        .value_kind:     hidden_global_offset_x
      - .offset:         232
        .size:           8
        .value_kind:     hidden_global_offset_y
      - .offset:         240
        .size:           8
        .value_kind:     hidden_global_offset_z
      - .offset:         248
        .size:           2
        .value_kind:     hidden_grid_dims
    .group_segment_fixed_size: 0
    .kernarg_segment_align: 8
    .kernarg_segment_size: 440
    .language:       OpenCL C
    .language_version:
      - 2
      - 0
    .max_flat_workgroup_size: 1024
    .name:           _ZN2at6native31max_unpooling3d_backward_kernelIhEEvPKT_lllN5torch10headeronly6detail27GenericPackedTensorAccessorINS7_14TensorAccessorIN3c108ArrayRefIlEElLm3ENS6_16DefaultPtrTraitsElEENS_6detail16IndexBoundsCheckILm4ElEElLm4ESD_lEENS8_INS9_ISC_S2_Lm3ESD_lEESH_S2_Lm4ESD_lEEi
    .private_segment_fixed_size: 0
    .sgpr_count:     31
    .sgpr_spill_count: 0
    .symbol:         _ZN2at6native31max_unpooling3d_backward_kernelIhEEvPKT_lllN5torch10headeronly6detail27GenericPackedTensorAccessorINS7_14TensorAccessorIN3c108ArrayRefIlEElLm3ENS6_16DefaultPtrTraitsElEENS_6detail16IndexBoundsCheckILm4ElEElLm4ESD_lEENS8_INS9_ISC_S2_Lm3ESD_lEESH_S2_Lm4ESD_lEEi.kd
    .uniform_work_group_size: 1
    .uses_dynamic_stack: false
    .vgpr_count:     12
    .vgpr_spill_count: 0
    .wavefront_size: 64
  - .args:
      - .address_space:  global
        .offset:         0
        .size:           8
        .value_kind:     global_buffer
      - .offset:         8
        .size:           8
        .value_kind:     by_value
      - .offset:         16
        .size:           8
        .value_kind:     by_value
      - .offset:         24
        .size:           8
        .value_kind:     by_value
      - .offset:         32
        .size:           72
        .value_kind:     by_value
      - .offset:         104
        .size:           72
        .value_kind:     by_value
      - .offset:         176
        .size:           4
        .value_kind:     by_value
      - .offset:         184
        .size:           4
        .value_kind:     hidden_block_count_x
      - .offset:         188
        .size:           4
        .value_kind:     hidden_block_count_y
      - .offset:         192
        .size:           4
        .value_kind:     hidden_block_count_z
      - .offset:         196
        .size:           2
        .value_kind:     hidden_group_size_x
      - .offset:         198
        .size:           2
        .value_kind:     hidden_group_size_y
      - .offset:         200
        .size:           2
        .value_kind:     hidden_group_size_z
      - .offset:         202
        .size:           2
        .value_kind:     hidden_remainder_x
      - .offset:         204
        .size:           2
        .value_kind:     hidden_remainder_y
      - .offset:         206
        .size:           2
        .value_kind:     hidden_remainder_z
      - .offset:         224
        .size:           8
        .value_kind:     hidden_global_offset_x
      - .offset:         232
        .size:           8
        .value_kind:     hidden_global_offset_y
      - .offset:         240
        .size:           8
        .value_kind:     hidden_global_offset_z
      - .offset:         248
        .size:           2
        .value_kind:     hidden_grid_dims
    .group_segment_fixed_size: 0
    .kernarg_segment_align: 8
    .kernarg_segment_size: 440
    .language:       OpenCL C
    .language_version:
      - 2
      - 0
    .max_flat_workgroup_size: 1024
    .name:           _ZN2at6native31max_unpooling3d_backward_kernelIaEEvPKT_lllN5torch10headeronly6detail27GenericPackedTensorAccessorINS7_14TensorAccessorIN3c108ArrayRefIlEElLm3ENS6_16DefaultPtrTraitsElEENS_6detail16IndexBoundsCheckILm4ElEElLm4ESD_lEENS8_INS9_ISC_S2_Lm3ESD_lEESH_S2_Lm4ESD_lEEi
    .private_segment_fixed_size: 0
    .sgpr_count:     31
    .sgpr_spill_count: 0
    .symbol:         _ZN2at6native31max_unpooling3d_backward_kernelIaEEvPKT_lllN5torch10headeronly6detail27GenericPackedTensorAccessorINS7_14TensorAccessorIN3c108ArrayRefIlEElLm3ENS6_16DefaultPtrTraitsElEENS_6detail16IndexBoundsCheckILm4ElEElLm4ESD_lEENS8_INS9_ISC_S2_Lm3ESD_lEESH_S2_Lm4ESD_lEEi.kd
    .uniform_work_group_size: 1
    .uses_dynamic_stack: false
    .vgpr_count:     12
    .vgpr_spill_count: 0
    .wavefront_size: 64
  - .args:
      - .address_space:  global
        .offset:         0
        .size:           8
        .value_kind:     global_buffer
      - .offset:         8
        .size:           8
        .value_kind:     by_value
      - .offset:         16
        .size:           8
        .value_kind:     by_value
      - .offset:         24
        .size:           8
        .value_kind:     by_value
      - .offset:         32
        .size:           72
        .value_kind:     by_value
      - .offset:         104
        .size:           72
        .value_kind:     by_value
      - .offset:         176
        .size:           4
        .value_kind:     by_value
      - .offset:         184
        .size:           4
        .value_kind:     hidden_block_count_x
      - .offset:         188
        .size:           4
        .value_kind:     hidden_block_count_y
      - .offset:         192
        .size:           4
        .value_kind:     hidden_block_count_z
      - .offset:         196
        .size:           2
        .value_kind:     hidden_group_size_x
      - .offset:         198
        .size:           2
        .value_kind:     hidden_group_size_y
      - .offset:         200
        .size:           2
        .value_kind:     hidden_group_size_z
      - .offset:         202
        .size:           2
        .value_kind:     hidden_remainder_x
      - .offset:         204
        .size:           2
        .value_kind:     hidden_remainder_y
      - .offset:         206
        .size:           2
        .value_kind:     hidden_remainder_z
      - .offset:         224
        .size:           8
        .value_kind:     hidden_global_offset_x
      - .offset:         232
        .size:           8
        .value_kind:     hidden_global_offset_y
      - .offset:         240
        .size:           8
        .value_kind:     hidden_global_offset_z
      - .offset:         248
        .size:           2
        .value_kind:     hidden_grid_dims
    .group_segment_fixed_size: 0
    .kernarg_segment_align: 8
    .kernarg_segment_size: 440
    .language:       OpenCL C
    .language_version:
      - 2
      - 0
    .max_flat_workgroup_size: 1024
    .name:           _ZN2at6native31max_unpooling3d_backward_kernelIiEEvPKT_lllN5torch10headeronly6detail27GenericPackedTensorAccessorINS7_14TensorAccessorIN3c108ArrayRefIlEElLm3ENS6_16DefaultPtrTraitsElEENS_6detail16IndexBoundsCheckILm4ElEElLm4ESD_lEENS8_INS9_ISC_S2_Lm3ESD_lEESH_S2_Lm4ESD_lEEi
    .private_segment_fixed_size: 0
    .sgpr_count:     31
    .sgpr_spill_count: 0
    .symbol:         _ZN2at6native31max_unpooling3d_backward_kernelIiEEvPKT_lllN5torch10headeronly6detail27GenericPackedTensorAccessorINS7_14TensorAccessorIN3c108ArrayRefIlEElLm3ENS6_16DefaultPtrTraitsElEENS_6detail16IndexBoundsCheckILm4ElEElLm4ESD_lEENS8_INS9_ISC_S2_Lm3ESD_lEESH_S2_Lm4ESD_lEEi.kd
    .uniform_work_group_size: 1
    .uses_dynamic_stack: false
    .vgpr_count:     12
    .vgpr_spill_count: 0
    .wavefront_size: 64
  - .args:
      - .address_space:  global
        .offset:         0
        .size:           8
        .value_kind:     global_buffer
      - .offset:         8
        .size:           8
        .value_kind:     by_value
      - .offset:         16
        .size:           8
        .value_kind:     by_value
      - .offset:         24
        .size:           8
        .value_kind:     by_value
      - .offset:         32
        .size:           72
        .value_kind:     by_value
      - .offset:         104
        .size:           72
        .value_kind:     by_value
      - .offset:         176
        .size:           4
        .value_kind:     by_value
      - .offset:         184
        .size:           4
        .value_kind:     hidden_block_count_x
      - .offset:         188
        .size:           4
        .value_kind:     hidden_block_count_y
      - .offset:         192
        .size:           4
        .value_kind:     hidden_block_count_z
      - .offset:         196
        .size:           2
        .value_kind:     hidden_group_size_x
      - .offset:         198
        .size:           2
        .value_kind:     hidden_group_size_y
      - .offset:         200
        .size:           2
        .value_kind:     hidden_group_size_z
      - .offset:         202
        .size:           2
        .value_kind:     hidden_remainder_x
      - .offset:         204
        .size:           2
        .value_kind:     hidden_remainder_y
      - .offset:         206
        .size:           2
        .value_kind:     hidden_remainder_z
      - .offset:         224
        .size:           8
        .value_kind:     hidden_global_offset_x
      - .offset:         232
        .size:           8
        .value_kind:     hidden_global_offset_y
      - .offset:         240
        .size:           8
        .value_kind:     hidden_global_offset_z
      - .offset:         248
        .size:           2
        .value_kind:     hidden_grid_dims
    .group_segment_fixed_size: 0
    .kernarg_segment_align: 8
    .kernarg_segment_size: 440
    .language:       OpenCL C
    .language_version:
      - 2
      - 0
    .max_flat_workgroup_size: 1024
    .name:           _ZN2at6native31max_unpooling3d_backward_kernelIlEEvPKT_lllN5torch10headeronly6detail27GenericPackedTensorAccessorINS7_14TensorAccessorIN3c108ArrayRefIlEElLm3ENS6_16DefaultPtrTraitsElEENS_6detail16IndexBoundsCheckILm4ElEElLm4ESD_lEENS8_INS9_ISC_S2_Lm3ESD_lEESH_S2_Lm4ESD_lEEi
    .private_segment_fixed_size: 0
    .sgpr_count:     31
    .sgpr_spill_count: 0
    .symbol:         _ZN2at6native31max_unpooling3d_backward_kernelIlEEvPKT_lllN5torch10headeronly6detail27GenericPackedTensorAccessorINS7_14TensorAccessorIN3c108ArrayRefIlEElLm3ENS6_16DefaultPtrTraitsElEENS_6detail16IndexBoundsCheckILm4ElEElLm4ESD_lEENS8_INS9_ISC_S2_Lm3ESD_lEESH_S2_Lm4ESD_lEEi.kd
    .uniform_work_group_size: 1
    .uses_dynamic_stack: false
    .vgpr_count:     12
    .vgpr_spill_count: 0
    .wavefront_size: 64
  - .args:
      - .address_space:  global
        .offset:         0
        .size:           8
        .value_kind:     global_buffer
      - .offset:         8
        .size:           8
        .value_kind:     by_value
      - .offset:         16
        .size:           8
        .value_kind:     by_value
      - .offset:         24
        .size:           8
        .value_kind:     by_value
      - .offset:         32
        .size:           72
        .value_kind:     by_value
      - .offset:         104
        .size:           72
        .value_kind:     by_value
      - .offset:         176
        .size:           4
        .value_kind:     by_value
      - .offset:         184
        .size:           4
        .value_kind:     hidden_block_count_x
      - .offset:         188
        .size:           4
        .value_kind:     hidden_block_count_y
      - .offset:         192
        .size:           4
        .value_kind:     hidden_block_count_z
      - .offset:         196
        .size:           2
        .value_kind:     hidden_group_size_x
      - .offset:         198
        .size:           2
        .value_kind:     hidden_group_size_y
      - .offset:         200
        .size:           2
        .value_kind:     hidden_group_size_z
      - .offset:         202
        .size:           2
        .value_kind:     hidden_remainder_x
      - .offset:         204
        .size:           2
        .value_kind:     hidden_remainder_y
      - .offset:         206
        .size:           2
        .value_kind:     hidden_remainder_z
      - .offset:         224
        .size:           8
        .value_kind:     hidden_global_offset_x
      - .offset:         232
        .size:           8
        .value_kind:     hidden_global_offset_y
      - .offset:         240
        .size:           8
        .value_kind:     hidden_global_offset_z
      - .offset:         248
        .size:           2
        .value_kind:     hidden_grid_dims
    .group_segment_fixed_size: 0
    .kernarg_segment_align: 8
    .kernarg_segment_size: 440
    .language:       OpenCL C
    .language_version:
      - 2
      - 0
    .max_flat_workgroup_size: 1024
    .name:           _ZN2at6native31max_unpooling3d_backward_kernelIsEEvPKT_lllN5torch10headeronly6detail27GenericPackedTensorAccessorINS7_14TensorAccessorIN3c108ArrayRefIlEElLm3ENS6_16DefaultPtrTraitsElEENS_6detail16IndexBoundsCheckILm4ElEElLm4ESD_lEENS8_INS9_ISC_S2_Lm3ESD_lEESH_S2_Lm4ESD_lEEi
    .private_segment_fixed_size: 0
    .sgpr_count:     31
    .sgpr_spill_count: 0
    .symbol:         _ZN2at6native31max_unpooling3d_backward_kernelIsEEvPKT_lllN5torch10headeronly6detail27GenericPackedTensorAccessorINS7_14TensorAccessorIN3c108ArrayRefIlEElLm3ENS6_16DefaultPtrTraitsElEENS_6detail16IndexBoundsCheckILm4ElEElLm4ESD_lEENS8_INS9_ISC_S2_Lm3ESD_lEESH_S2_Lm4ESD_lEEi.kd
    .uniform_work_group_size: 1
    .uses_dynamic_stack: false
    .vgpr_count:     12
    .vgpr_spill_count: 0
    .wavefront_size: 64
  - .args:
      - .address_space:  global
        .offset:         0
        .size:           8
        .value_kind:     global_buffer
      - .offset:         8
        .size:           8
        .value_kind:     by_value
      - .offset:         16
        .size:           8
        .value_kind:     by_value
      - .offset:         24
        .size:           8
        .value_kind:     by_value
      - .offset:         32
        .size:           72
        .value_kind:     by_value
      - .offset:         104
        .size:           72
        .value_kind:     by_value
      - .offset:         176
        .size:           4
        .value_kind:     by_value
      - .offset:         184
        .size:           4
        .value_kind:     hidden_block_count_x
      - .offset:         188
        .size:           4
        .value_kind:     hidden_block_count_y
      - .offset:         192
        .size:           4
        .value_kind:     hidden_block_count_z
      - .offset:         196
        .size:           2
        .value_kind:     hidden_group_size_x
      - .offset:         198
        .size:           2
        .value_kind:     hidden_group_size_y
      - .offset:         200
        .size:           2
        .value_kind:     hidden_group_size_z
      - .offset:         202
        .size:           2
        .value_kind:     hidden_remainder_x
      - .offset:         204
        .size:           2
        .value_kind:     hidden_remainder_y
      - .offset:         206
        .size:           2
        .value_kind:     hidden_remainder_z
      - .offset:         224
        .size:           8
        .value_kind:     hidden_global_offset_x
      - .offset:         232
        .size:           8
        .value_kind:     hidden_global_offset_y
      - .offset:         240
        .size:           8
        .value_kind:     hidden_global_offset_z
      - .offset:         248
        .size:           2
        .value_kind:     hidden_grid_dims
    .group_segment_fixed_size: 0
    .kernarg_segment_align: 8
    .kernarg_segment_size: 440
    .language:       OpenCL C
    .language_version:
      - 2
      - 0
    .max_flat_workgroup_size: 1024
    .name:           _ZN2at6native31max_unpooling3d_backward_kernelIdEEvPKT_lllN5torch10headeronly6detail27GenericPackedTensorAccessorINS7_14TensorAccessorIN3c108ArrayRefIlEElLm3ENS6_16DefaultPtrTraitsElEENS_6detail16IndexBoundsCheckILm4ElEElLm4ESD_lEENS8_INS9_ISC_S2_Lm3ESD_lEESH_S2_Lm4ESD_lEEi
    .private_segment_fixed_size: 0
    .sgpr_count:     31
    .sgpr_spill_count: 0
    .symbol:         _ZN2at6native31max_unpooling3d_backward_kernelIdEEvPKT_lllN5torch10headeronly6detail27GenericPackedTensorAccessorINS7_14TensorAccessorIN3c108ArrayRefIlEElLm3ENS6_16DefaultPtrTraitsElEENS_6detail16IndexBoundsCheckILm4ElEElLm4ESD_lEENS8_INS9_ISC_S2_Lm3ESD_lEESH_S2_Lm4ESD_lEEi.kd
    .uniform_work_group_size: 1
    .uses_dynamic_stack: false
    .vgpr_count:     12
    .vgpr_spill_count: 0
    .wavefront_size: 64
  - .args:
      - .address_space:  global
        .offset:         0
        .size:           8
        .value_kind:     global_buffer
      - .offset:         8
        .size:           8
        .value_kind:     by_value
      - .offset:         16
        .size:           8
        .value_kind:     by_value
      - .offset:         24
        .size:           8
        .value_kind:     by_value
      - .offset:         32
        .size:           72
        .value_kind:     by_value
      - .offset:         104
        .size:           72
        .value_kind:     by_value
      - .offset:         176
        .size:           4
        .value_kind:     by_value
      - .offset:         184
        .size:           4
        .value_kind:     hidden_block_count_x
      - .offset:         188
        .size:           4
        .value_kind:     hidden_block_count_y
      - .offset:         192
        .size:           4
        .value_kind:     hidden_block_count_z
      - .offset:         196
        .size:           2
        .value_kind:     hidden_group_size_x
      - .offset:         198
        .size:           2
        .value_kind:     hidden_group_size_y
      - .offset:         200
        .size:           2
        .value_kind:     hidden_group_size_z
      - .offset:         202
        .size:           2
        .value_kind:     hidden_remainder_x
      - .offset:         204
        .size:           2
        .value_kind:     hidden_remainder_y
      - .offset:         206
        .size:           2
        .value_kind:     hidden_remainder_z
      - .offset:         224
        .size:           8
        .value_kind:     hidden_global_offset_x
      - .offset:         232
        .size:           8
        .value_kind:     hidden_global_offset_y
      - .offset:         240
        .size:           8
        .value_kind:     hidden_global_offset_z
      - .offset:         248
        .size:           2
        .value_kind:     hidden_grid_dims
    .group_segment_fixed_size: 0
    .kernarg_segment_align: 8
    .kernarg_segment_size: 440
    .language:       OpenCL C
    .language_version:
      - 2
      - 0
    .max_flat_workgroup_size: 1024
    .name:           _ZN2at6native31max_unpooling3d_backward_kernelIfEEvPKT_lllN5torch10headeronly6detail27GenericPackedTensorAccessorINS7_14TensorAccessorIN3c108ArrayRefIlEElLm3ENS6_16DefaultPtrTraitsElEENS_6detail16IndexBoundsCheckILm4ElEElLm4ESD_lEENS8_INS9_ISC_S2_Lm3ESD_lEESH_S2_Lm4ESD_lEEi
    .private_segment_fixed_size: 0
    .sgpr_count:     31
    .sgpr_spill_count: 0
    .symbol:         _ZN2at6native31max_unpooling3d_backward_kernelIfEEvPKT_lllN5torch10headeronly6detail27GenericPackedTensorAccessorINS7_14TensorAccessorIN3c108ArrayRefIlEElLm3ENS6_16DefaultPtrTraitsElEENS_6detail16IndexBoundsCheckILm4ElEElLm4ESD_lEENS8_INS9_ISC_S2_Lm3ESD_lEESH_S2_Lm4ESD_lEEi.kd
    .uniform_work_group_size: 1
    .uses_dynamic_stack: false
    .vgpr_count:     12
    .vgpr_spill_count: 0
    .wavefront_size: 64
  - .args:
      - .address_space:  global
        .offset:         0
        .size:           8
        .value_kind:     global_buffer
      - .offset:         8
        .size:           8
        .value_kind:     by_value
      - .offset:         16
        .size:           8
        .value_kind:     by_value
      - .offset:         24
        .size:           8
        .value_kind:     by_value
      - .offset:         32
        .size:           72
        .value_kind:     by_value
      - .offset:         104
        .size:           72
        .value_kind:     by_value
      - .offset:         176
        .size:           4
        .value_kind:     by_value
      - .offset:         184
        .size:           4
        .value_kind:     hidden_block_count_x
      - .offset:         188
        .size:           4
        .value_kind:     hidden_block_count_y
      - .offset:         192
        .size:           4
        .value_kind:     hidden_block_count_z
      - .offset:         196
        .size:           2
        .value_kind:     hidden_group_size_x
      - .offset:         198
        .size:           2
        .value_kind:     hidden_group_size_y
      - .offset:         200
        .size:           2
        .value_kind:     hidden_group_size_z
      - .offset:         202
        .size:           2
        .value_kind:     hidden_remainder_x
      - .offset:         204
        .size:           2
        .value_kind:     hidden_remainder_y
      - .offset:         206
        .size:           2
        .value_kind:     hidden_remainder_z
      - .offset:         224
        .size:           8
        .value_kind:     hidden_global_offset_x
      - .offset:         232
        .size:           8
        .value_kind:     hidden_global_offset_y
      - .offset:         240
        .size:           8
        .value_kind:     hidden_global_offset_z
      - .offset:         248
        .size:           2
        .value_kind:     hidden_grid_dims
    .group_segment_fixed_size: 0
    .kernarg_segment_align: 8
    .kernarg_segment_size: 440
    .language:       OpenCL C
    .language_version:
      - 2
      - 0
    .max_flat_workgroup_size: 1024
    .name:           _ZN2at6native31max_unpooling3d_backward_kernelIN3c104HalfEEEvPKT_lllN5torch10headeronly6detail27GenericPackedTensorAccessorINS9_14TensorAccessorINS2_8ArrayRefIlEElLm3ENS8_16DefaultPtrTraitsElEENS_6detail16IndexBoundsCheckILm4ElEElLm4ESE_lEENSA_INSB_ISD_S4_Lm3ESE_lEESI_S4_Lm4ESE_lEEi
    .private_segment_fixed_size: 0
    .sgpr_count:     31
    .sgpr_spill_count: 0
    .symbol:         _ZN2at6native31max_unpooling3d_backward_kernelIN3c104HalfEEEvPKT_lllN5torch10headeronly6detail27GenericPackedTensorAccessorINS9_14TensorAccessorINS2_8ArrayRefIlEElLm3ENS8_16DefaultPtrTraitsElEENS_6detail16IndexBoundsCheckILm4ElEElLm4ESE_lEENSA_INSB_ISD_S4_Lm3ESE_lEESI_S4_Lm4ESE_lEEi.kd
    .uniform_work_group_size: 1
    .uses_dynamic_stack: false
    .vgpr_count:     12
    .vgpr_spill_count: 0
    .wavefront_size: 64
  - .args:
      - .address_space:  global
        .offset:         0
        .size:           8
        .value_kind:     global_buffer
      - .offset:         8
        .size:           8
        .value_kind:     by_value
      - .offset:         16
        .size:           8
        .value_kind:     by_value
      - .offset:         24
        .size:           8
        .value_kind:     by_value
      - .offset:         32
        .size:           72
        .value_kind:     by_value
      - .offset:         104
        .size:           72
        .value_kind:     by_value
      - .offset:         176
        .size:           4
        .value_kind:     by_value
      - .offset:         184
        .size:           4
        .value_kind:     hidden_block_count_x
      - .offset:         188
        .size:           4
        .value_kind:     hidden_block_count_y
      - .offset:         192
        .size:           4
        .value_kind:     hidden_block_count_z
      - .offset:         196
        .size:           2
        .value_kind:     hidden_group_size_x
      - .offset:         198
        .size:           2
        .value_kind:     hidden_group_size_y
      - .offset:         200
        .size:           2
        .value_kind:     hidden_group_size_z
      - .offset:         202
        .size:           2
        .value_kind:     hidden_remainder_x
      - .offset:         204
        .size:           2
        .value_kind:     hidden_remainder_y
      - .offset:         206
        .size:           2
        .value_kind:     hidden_remainder_z
      - .offset:         224
        .size:           8
        .value_kind:     hidden_global_offset_x
      - .offset:         232
        .size:           8
        .value_kind:     hidden_global_offset_y
      - .offset:         240
        .size:           8
        .value_kind:     hidden_global_offset_z
      - .offset:         248
        .size:           2
        .value_kind:     hidden_grid_dims
    .group_segment_fixed_size: 0
    .kernarg_segment_align: 8
    .kernarg_segment_size: 440
    .language:       OpenCL C
    .language_version:
      - 2
      - 0
    .max_flat_workgroup_size: 1024
    .name:           _ZN2at6native31max_unpooling3d_backward_kernelIN3c108BFloat16EEEvPKT_lllN5torch10headeronly6detail27GenericPackedTensorAccessorINS9_14TensorAccessorINS2_8ArrayRefIlEElLm3ENS8_16DefaultPtrTraitsElEENS_6detail16IndexBoundsCheckILm4ElEElLm4ESE_lEENSA_INSB_ISD_S4_Lm3ESE_lEESI_S4_Lm4ESE_lEEi
    .private_segment_fixed_size: 0
    .sgpr_count:     31
    .sgpr_spill_count: 0
    .symbol:         _ZN2at6native31max_unpooling3d_backward_kernelIN3c108BFloat16EEEvPKT_lllN5torch10headeronly6detail27GenericPackedTensorAccessorINS9_14TensorAccessorINS2_8ArrayRefIlEElLm3ENS8_16DefaultPtrTraitsElEENS_6detail16IndexBoundsCheckILm4ElEElLm4ESE_lEENSA_INSB_ISD_S4_Lm3ESE_lEESI_S4_Lm4ESE_lEEi.kd
    .uniform_work_group_size: 1
    .uses_dynamic_stack: false
    .vgpr_count:     12
    .vgpr_spill_count: 0
    .wavefront_size: 64
amdhsa.target:   amdgcn-amd-amdhsa--gfx906
amdhsa.version:
  - 1
  - 2
...

	.end_amdgpu_metadata
